;; amdgpu-corpus repo=ROCm/rocFFT kind=compiled arch=gfx950 opt=O3
	.text
	.amdgcn_target "amdgcn-amd-amdhsa--gfx950"
	.amdhsa_code_object_version 6
	.protected	bluestein_single_fwd_len792_dim1_sp_op_CI_CI ; -- Begin function bluestein_single_fwd_len792_dim1_sp_op_CI_CI
	.globl	bluestein_single_fwd_len792_dim1_sp_op_CI_CI
	.p2align	8
	.type	bluestein_single_fwd_len792_dim1_sp_op_CI_CI,@function
bluestein_single_fwd_len792_dim1_sp_op_CI_CI: ; @bluestein_single_fwd_len792_dim1_sp_op_CI_CI
; %bb.0:
	s_load_dwordx4 s[12:15], s[0:1], 0x28
	v_mul_u32_u24_e32 v1, 0x2e9, v0
	v_lshrrev_b32_e32 v2, 16, v1
	v_mov_b32_e32 v59, 0
	v_lshl_add_u32 v66, s2, 1, v2
	v_mov_b32_e32 v67, v59
	s_waitcnt lgkmcnt(0)
	v_cmp_gt_u64_e32 vcc, s[12:13], v[66:67]
	s_and_saveexec_b64 s[2:3], vcc
	s_cbranch_execz .LBB0_39
; %bb.1:
	s_load_dwordx4 s[4:7], s[0:1], 0x18
	s_load_dwordx2 s[16:17], s[0:1], 0x0
	v_mul_lo_u16_e32 v1, 0x58, v2
	v_sub_u16_e32 v58, v0, v1
	v_mov_b32_e32 v4, s14
	s_waitcnt lgkmcnt(0)
	s_load_dwordx4 s[8:11], s[4:5], 0x0
	v_mov_b32_e32 v5, s15
	s_movk_i32 s12, 0x1000
	v_and_b32_e32 v2, 1, v2
	v_mov_b32_e32 v3, 0x318
	s_waitcnt lgkmcnt(0)
	v_mad_u64_u32 v[0:1], s[2:3], s10, v66, 0
	v_mov_b32_e32 v6, v1
	v_mad_u64_u32 v[6:7], s[2:3], s11, v66, v[6:7]
	v_mov_b32_e32 v1, v6
	;; [unrolled: 2-line block ×3, first 2 shown]
	v_mad_u64_u32 v[8:9], s[2:3], s9, v58, v[8:9]
	s_mul_i32 s2, s9, 0x18c
	s_mul_hi_u32 s3, s8, 0x18c
	s_mul_hi_u32 s5, s8, 0xfffffecc
	v_mov_b32_e32 v7, v8
	v_lshl_add_u64 v[0:1], v[0:1], 3, v[4:5]
	s_add_i32 s3, s3, s2
	s_mul_i32 s2, s8, 0x18c
	s_mul_i32 s4, s9, 0xfffffecc
	s_sub_i32 s5, s5, s8
	v_lshl_add_u64 v[0:1], v[6:7], 3, v[0:1]
	s_lshl_b64 s[10:11], s[2:3], 3
	s_add_i32 s5, s5, s4
	s_mul_i32 s4, s8, 0xfffffecc
	v_lshl_add_u64 v[6:7], v[0:1], 0, s[10:11]
	s_lshl_b64 s[8:9], s[4:5], 3
	v_lshlrev_b32_e32 v4, 3, v58
	global_load_dwordx2 v[8:9], v[0:1], off
	global_load_dwordx2 v[10:11], v[6:7], off
	global_load_dwordx2 v[74:75], v4, s[16:17] offset:3168
	v_lshl_add_u64 v[0:1], v[6:7], 0, s[8:9]
	v_mov_b32_e32 v5, v59
	global_load_dwordx2 v[76:77], v4, s[16:17]
	global_load_dwordx2 v[72:73], v4, s[16:17] offset:704
	global_load_dwordx2 v[6:7], v[0:1], off
	v_lshl_add_u64 v[0:1], v[0:1], 0, s[10:11]
	v_lshl_add_u64 v[56:57], s[16:17], 0, v[4:5]
	global_load_dwordx2 v[12:13], v[0:1], off
	global_load_dwordx2 v[70:71], v4, s[16:17] offset:3872
	v_lshl_add_u64 v[0:1], v[0:1], 0, s[8:9]
	global_load_dwordx2 v[14:15], v[0:1], off
	global_load_dwordx2 v[68:69], v4, s[16:17] offset:1408
	v_lshl_add_u64 v[0:1], v[0:1], 0, s[10:11]
	v_add_co_u32_e32 v18, vcc, s12, v56
	global_load_dwordx2 v[16:17], v[0:1], off
	s_nop 0
	v_addc_co_u32_e32 v19, vcc, 0, v57, vcc
	v_lshl_add_u64 v[0:1], v[0:1], 0, s[8:9]
	global_load_dwordx2 v[64:65], v[18:19], off offset:480
	global_load_dwordx2 v[20:21], v[0:1], off
	global_load_dwordx2 v[62:63], v4, s[16:17] offset:2112
	v_lshl_add_u64 v[0:1], v[0:1], 0, s[10:11]
	global_load_dwordx2 v[60:61], v[18:19], off offset:1184
	global_load_dwordx2 v[22:23], v[0:1], off
	v_cmp_eq_u32_e32 vcc, 1, v2
	s_load_dwordx2 s[12:13], s[0:1], 0x38
	s_load_dwordx4 s[8:11], s[6:7], 0x0
	v_cndmask_b32_e32 v2, 0, v3, vcc
	v_lshlrev_b32_e32 v170, 3, v2
	v_add_u32_e32 v67, v170, v4
	v_add_u32_e32 v3, 0xc00, v67
	;; [unrolled: 1-line block ×3, first 2 shown]
	v_cmp_gt_u16_e64 s[6:7], 44, v58
	s_waitcnt vmcnt(12)
	v_mul_f32_e32 v4, v9, v77
	v_mul_f32_e32 v5, v8, v77
	v_fmac_f32_e32 v4, v8, v76
	v_fma_f32 v5, v9, v76, -v5
	v_mul_f32_e32 v8, v11, v75
	v_mul_f32_e32 v9, v10, v75
	v_fmac_f32_e32 v8, v10, v74
	v_fma_f32 v9, v11, v74, -v9
	s_waitcnt vmcnt(10)
	v_mul_f32_e32 v10, v7, v73
	v_mul_f32_e32 v11, v6, v73
	v_fmac_f32_e32 v10, v6, v72
	v_fma_f32 v11, v7, v72, -v11
	ds_write_b64 v67, v[8:9] offset:3168
	s_waitcnt vmcnt(8)
	v_mul_f32_e32 v6, v13, v71
	v_mul_f32_e32 v7, v12, v71
	ds_write2_b64 v67, v[4:5], v[10:11] offset1:88
	s_waitcnt vmcnt(6)
	v_mul_f32_e32 v4, v15, v69
	v_mul_f32_e32 v5, v14, v69
	s_waitcnt vmcnt(4)
	v_mul_f32_e32 v8, v17, v65
	v_mul_f32_e32 v9, v16, v65
	;; [unrolled: 3-line block ×3, first 2 shown]
	v_fmac_f32_e32 v6, v12, v70
	v_fma_f32 v7, v13, v70, -v7
	v_fmac_f32_e32 v4, v14, v68
	v_fma_f32 v5, v15, v68, -v5
	;; [unrolled: 2-line block ×4, first 2 shown]
	ds_write2_b64 v3, v[6:7], v[8:9] offset0:100 offset1:188
	ds_write2_b64 v2, v[4:5], v[10:11] offset0:48 offset1:136
	s_waitcnt vmcnt(0)
	v_mul_f32_e32 v4, v23, v61
	v_mul_f32_e32 v3, v22, v61
	v_fmac_f32_e32 v4, v22, v60
	v_fma_f32 v5, v23, v60, -v3
	ds_write_b64 v67, v[4:5] offset:5280
	s_and_saveexec_b64 s[14:15], s[6:7]
	s_cbranch_execz .LBB0_3
; %bb.2:
	v_lshl_add_u64 v[0:1], s[4:5], 3, v[0:1]
	v_add_co_u32_e32 v8, vcc, 0x1000, v56
	global_load_dwordx2 v[4:5], v[0:1], off
	global_load_dwordx2 v[6:7], v[56:57], off offset:2816
	v_lshl_add_u64 v[0:1], s[2:3], 3, v[0:1]
	v_addc_co_u32_e32 v9, vcc, 0, v57, vcc
	global_load_dwordx2 v[0:1], v[0:1], off
	s_waitcnt vmcnt(1)
	v_mul_f32_e32 v10, v5, v7
	global_load_dwordx2 v[8:9], v[8:9], off offset:1888
	v_mul_f32_e32 v3, v4, v7
	v_fmac_f32_e32 v10, v4, v6
	v_fma_f32 v11, v5, v6, -v3
	ds_write_b64 v67, v[10:11] offset:2816
	s_waitcnt vmcnt(0)
	v_mul_f32_e32 v4, v1, v9
	v_mul_f32_e32 v3, v0, v9
	v_fmac_f32_e32 v4, v0, v8
	v_fma_f32 v5, v1, v8, -v3
	ds_write_b64 v67, v[4:5] offset:5984
.LBB0_3:
	s_or_b64 exec, exec, s[14:15]
	v_add_u32_e32 v0, 0x800, v67
	s_waitcnt lgkmcnt(0)
	s_barrier
	ds_read2_b64 v[8:11], v67 offset1:88
	ds_read2_b64 v[12:15], v0 offset0:140 offset1:228
	ds_read2_b64 v[4:7], v2 offset0:48 offset1:136
	v_add_u32_e32 v0, 0x1000, v67
	ds_read2_b64 v[0:3], v0 offset0:60 offset1:148
                                        ; implicit-def: $vgpr16
                                        ; implicit-def: $vgpr18
	s_and_saveexec_b64 s[2:3], s[6:7]
	s_cbranch_execz .LBB0_5
; %bb.4:
	ds_read_b64 v[16:17], v67 offset:2816
	ds_read_b64 v[18:19], v67 offset:5984
.LBB0_5:
	s_or_b64 exec, exec, s[2:3]
	s_mov_b64 s[2:3], 0x58
	s_load_dwordx2 s[0:1], s[0:1], 0x8
	v_lshl_add_u64 v[22:23], v[58:59], 0, s[2:3]
	s_mov_b64 s[2:3], 0xb0
	v_lshl_add_u64 v[20:21], v[58:59], 0, s[2:3]
	s_waitcnt lgkmcnt(0)
	v_pk_add_f32 v[28:29], v[8:9], v[12:13] neg_lo:[0,1] neg_hi:[0,1]
	v_lshlrev_b32_e32 v21, 1, v58
	s_mov_b64 s[2:3], 0x160
	v_pk_add_f32 v[12:13], v[10:11], v[14:15] neg_lo:[0,1] neg_hi:[0,1]
	v_lshl_add_u32 v173, v58, 4, v170
	v_pk_fma_f32 v[26:27], v[8:9], 2.0, v[28:29] op_sel_hi:[1,0,1] neg_lo:[0,0,1] neg_hi:[0,0,1]
	v_lshl_add_u64 v[24:25], v[58:59], 0, s[2:3]
	v_pk_add_f32 v[14:15], v[4:5], v[0:1] neg_lo:[0,1] neg_hi:[0,1]
	v_pk_add_f32 v[32:33], v[6:7], v[2:3] neg_lo:[0,1] neg_hi:[0,1]
	v_pk_add_f32 v[2:3], v[16:17], v[18:19] neg_lo:[0,1] neg_hi:[0,1]
	s_barrier
	ds_write_b128 v173, v[26:29]
	v_lshl_add_u32 v175, v22, 4, v170
	v_pk_fma_f32 v[10:11], v[10:11], 2.0, v[12:13] op_sel_hi:[1,0,1] neg_lo:[0,0,1] neg_hi:[0,0,1]
	v_add_u32_e32 v28, 0x210, v21
	v_pk_fma_f32 v[0:1], v[16:17], 2.0, v[2:3] op_sel_hi:[1,0,1] neg_lo:[0,0,1] neg_hi:[0,0,1]
	v_lshlrev_b32_e32 v23, 1, v22
	ds_write_b128 v175, v[10:13]
	v_lshlrev_b32_e32 v25, 1, v20
	v_lshl_add_u32 v176, v20, 4, v170
	v_pk_fma_f32 v[12:13], v[4:5], 2.0, v[14:15] op_sel_hi:[1,0,1] neg_lo:[0,0,1] neg_hi:[0,0,1]
	v_lshl_add_u32 v177, v28, 3, v170
	v_pk_fma_f32 v[30:31], v[6:7], 2.0, v[32:33] op_sel_hi:[1,0,1] neg_lo:[0,0,1] neg_hi:[0,0,1]
	v_lshl_add_u32 v174, v24, 4, v170
	ds_write_b128 v176, v[12:15]
	ds_write_b128 v177, v[30:33]
	s_and_saveexec_b64 s[2:3], s[6:7]
	s_cbranch_execz .LBB0_7
; %bb.6:
	ds_write_b128 v174, v[0:3]
.LBB0_7:
	s_or_b64 exec, exec, s[2:3]
	v_add_u32_e32 v8, 0x800, v67
	s_waitcnt lgkmcnt(0)
	s_barrier
	ds_read2_b64 v[12:15], v8 offset0:140 offset1:228
	v_add_u32_e32 v8, 0x400, v67
	v_add_u32_e32 v16, 0x1000, v67
	ds_read2_b64 v[4:7], v67 offset1:88
	ds_read2_b64 v[8:11], v8 offset0:48 offset1:136
	ds_read2_b64 v[16:19], v16 offset0:60 offset1:148
	s_and_saveexec_b64 s[2:3], s[6:7]
	s_cbranch_execz .LBB0_9
; %bb.8:
	ds_read_b64 v[0:1], v67 offset:2816
	ds_read_b64 v[2:3], v67 offset:5984
.LBB0_9:
	s_or_b64 exec, exec, s[2:3]
	v_and_b32_e32 v171, 1, v58
	v_lshlrev_b32_e32 v26, 3, v171
	global_load_dwordx2 v[78:79], v26, s[0:1]
	s_movk_i32 s2, 0xfc
	s_movk_i32 s3, 0x1fc
	;; [unrolled: 1-line block ×3, first 2 shown]
	v_and_or_b32 v26, v21, s2, v171
	v_and_or_b32 v27, v23, s3, v171
	;; [unrolled: 1-line block ×3, first 2 shown]
	v_lshl_add_u32 v182, v26, 3, v170
	v_lshl_add_u32 v180, v27, 3, v170
	;; [unrolled: 1-line block ×3, first 2 shown]
	v_and_or_b32 v29, v25, s4, v171
	v_lshl_add_u32 v179, v29, 3, v170
	v_lshlrev_b32_e32 v59, 1, v24
	s_waitcnt lgkmcnt(0)
	s_barrier
	s_waitcnt vmcnt(0)
	v_pk_mul_f32 v[26:27], v[2:3], v[78:79] op_sel:[1,0]
	v_pk_mul_f32 v[30:31], v[12:13], v[78:79] op_sel:[0,1]
	;; [unrolled: 1-line block ×5, first 2 shown]
	v_pk_fma_f32 v[38:39], v[2:3], v[78:79], v[26:27] op_sel:[0,0,1] op_sel_hi:[1,1,0] neg_lo:[0,0,1] neg_hi:[0,0,1]
	v_pk_fma_f32 v[2:3], v[2:3], v[78:79], v[26:27] op_sel:[0,0,1] op_sel_hi:[0,1,0]
	v_pk_fma_f32 v[40:41], v[12:13], v[78:79], v[30:31] op_sel:[0,0,1] op_sel_hi:[1,1,0] neg_lo:[0,0,1] neg_hi:[0,0,1]
	v_pk_fma_f32 v[12:13], v[12:13], v[78:79], v[30:31] op_sel:[0,0,1] op_sel_hi:[1,0,0]
	;; [unrolled: 2-line block ×5, first 2 shown]
	v_mov_b32_e32 v39, v3
	v_mov_b32_e32 v41, v13
	;; [unrolled: 1-line block ×5, first 2 shown]
	v_pk_add_f32 v[26:27], v[0:1], v[38:39] neg_lo:[0,1] neg_hi:[0,1]
	v_pk_add_f32 v[2:3], v[4:5], v[40:41] neg_lo:[0,1] neg_hi:[0,1]
	;; [unrolled: 1-line block ×5, first 2 shown]
	v_pk_fma_f32 v[18:19], v[0:1], 2.0, v[26:27] op_sel_hi:[1,0,1] neg_lo:[0,0,1] neg_hi:[0,0,1]
	v_pk_fma_f32 v[0:1], v[4:5], 2.0, v[2:3] op_sel_hi:[1,0,1] neg_lo:[0,0,1] neg_hi:[0,0,1]
	;; [unrolled: 1-line block ×5, first 2 shown]
	ds_write2_b64 v182, v[0:1], v[2:3] offset1:2
	ds_write2_b64 v180, v[4:5], v[12:13] offset1:2
	;; [unrolled: 1-line block ×4, first 2 shown]
	s_and_saveexec_b64 s[2:3], s[6:7]
	s_cbranch_execz .LBB0_11
; %bb.10:
	v_and_or_b32 v0, v59, s4, v171
	v_lshl_add_u32 v0, v0, 3, v170
	ds_write2_b64 v0, v[18:19], v[26:27] offset1:2
.LBB0_11:
	s_or_b64 exec, exec, s[2:3]
	v_add_u32_e32 v4, 0x800, v67
	s_waitcnt lgkmcnt(0)
	s_barrier
	ds_read2_b64 v[8:11], v4 offset0:140 offset1:228
	v_add_u32_e32 v4, 0x400, v67
	v_add_u32_e32 v12, 0x1000, v67
	ds_read2_b64 v[0:3], v67 offset1:88
	ds_read2_b64 v[4:7], v4 offset0:48 offset1:136
	ds_read2_b64 v[12:15], v12 offset0:60 offset1:148
	s_and_saveexec_b64 s[2:3], s[6:7]
	s_cbranch_execz .LBB0_13
; %bb.12:
	ds_read_b64 v[18:19], v67 offset:2816
	ds_read_b64 v[26:27], v67 offset:5984
.LBB0_13:
	s_or_b64 exec, exec, s[2:3]
	v_and_b32_e32 v172, 3, v58
	v_lshlrev_b32_e32 v16, 3, v172
	global_load_dwordx2 v[80:81], v16, s[0:1] offset:16
	s_movk_i32 s4, 0x3f8
	s_movk_i32 s2, 0xf8
	;; [unrolled: 1-line block ×3, first 2 shown]
	v_and_or_b32 v24, v28, s4, v172
	v_and_or_b32 v16, v21, s2, v172
	;; [unrolled: 1-line block ×4, first 2 shown]
	v_lshl_add_u32 v181, v24, 3, v170
	v_mov_b32_e32 v17, 0
	v_lshl_add_u32 v185, v16, 3, v170
	v_lshl_add_u32 v184, v21, 3, v170
	;; [unrolled: 1-line block ×3, first 2 shown]
	s_waitcnt lgkmcnt(0)
	s_barrier
	s_waitcnt vmcnt(0)
	v_pk_mul_f32 v[24:25], v[26:27], v[80:81] op_sel:[1,0]
	v_pk_mul_f32 v[28:29], v[8:9], v[80:81] op_sel:[0,1]
	;; [unrolled: 1-line block ×5, first 2 shown]
	v_pk_fma_f32 v[36:37], v[26:27], v[80:81], v[24:25] op_sel:[0,0,1] op_sel_hi:[1,1,0] neg_lo:[0,0,1] neg_hi:[0,0,1]
	v_pk_fma_f32 v[24:25], v[26:27], v[80:81], v[24:25] op_sel:[0,0,1] op_sel_hi:[0,1,0]
	v_pk_fma_f32 v[26:27], v[8:9], v[80:81], v[28:29] op_sel:[0,0,1] op_sel_hi:[1,1,0] neg_lo:[0,0,1] neg_hi:[0,0,1]
	v_pk_fma_f32 v[8:9], v[8:9], v[80:81], v[28:29] op_sel:[0,0,1] op_sel_hi:[1,0,0]
	;; [unrolled: 2-line block ×5, first 2 shown]
	v_mov_b32_e32 v27, v9
	v_mov_b32_e32 v37, v25
	;; [unrolled: 1-line block ×5, first 2 shown]
	v_pk_add_f32 v[8:9], v[0:1], v[26:27] neg_lo:[0,1] neg_hi:[0,1]
	v_pk_add_f32 v[38:39], v[18:19], v[36:37] neg_lo:[0,1] neg_hi:[0,1]
	;; [unrolled: 1-line block ×5, first 2 shown]
	v_pk_fma_f32 v[0:1], v[0:1], 2.0, v[8:9] op_sel_hi:[1,0,1] neg_lo:[0,0,1] neg_hi:[0,0,1]
	v_pk_fma_f32 v[2:3], v[2:3], 2.0, v[10:11] op_sel_hi:[1,0,1] neg_lo:[0,0,1] neg_hi:[0,0,1]
	;; [unrolled: 1-line block ×4, first 2 shown]
	ds_write2_b64 v185, v[0:1], v[8:9] offset1:4
	ds_write2_b64 v184, v[2:3], v[10:11] offset1:4
	;; [unrolled: 1-line block ×4, first 2 shown]
	s_and_saveexec_b64 s[2:3], s[6:7]
	s_cbranch_execz .LBB0_15
; %bb.14:
	v_and_or_b32 v0, v59, s4, v172
	v_lshl_add_u32 v2, v0, 3, v170
	v_pk_fma_f32 v[0:1], v[18:19], 2.0, v[38:39] op_sel_hi:[1,0,1] neg_lo:[0,0,1] neg_hi:[0,0,1]
	ds_write2_b64 v2, v[0:1], v[38:39] offset1:4
.LBB0_15:
	s_or_b64 exec, exec, s[2:3]
	v_and_b32_e32 v16, 7, v58
	v_lshlrev_b32_e32 v0, 4, v16
	s_waitcnt lgkmcnt(0)
	s_barrier
	global_load_dwordx4 v[0:3], v0, s[0:1] offset:48
	v_lshrrev_b32_e32 v8, 3, v58
	v_lshrrev_b32_e32 v9, 3, v22
	;; [unrolled: 1-line block ×3, first 2 shown]
	v_add_u32_e32 v21, 0x400, v67
	v_add_u32_e32 v42, 0x800, v67
	ds_read_b64 v[18:19], v67 offset:5632
	ds_read2_b64 v[4:7], v67 offset1:88
	v_add_u32_e32 v43, 0x1000, v67
	v_mul_u32_u24_e32 v23, 24, v8
	v_mul_u32_u24_e32 v28, 24, v9
	;; [unrolled: 1-line block ×3, first 2 shown]
	ds_read2_b64 v[8:11], v21 offset0:48 offset1:136
	ds_read2_b64 v[12:15], v42 offset0:96 offset1:184
	;; [unrolled: 1-line block ×3, first 2 shown]
	v_or_b32_e32 v23, v23, v16
	v_or_b32_e32 v28, v28, v16
	;; [unrolled: 1-line block ×3, first 2 shown]
	v_lshl_add_u32 v186, v16, 3, v170
	v_lshl_add_u32 v187, v28, 3, v170
	s_mov_b32 s2, 0x3f5db3d7
	v_lshl_add_u32 v188, v23, 3, v170
	s_waitcnt lgkmcnt(0)
	s_barrier
	s_movk_i32 s4, 0x47
	v_cmp_lt_u16_e64 s[4:5], s4, v58
	s_waitcnt vmcnt(0)
	v_mov_b32_e32 v16, v3
	v_pk_mul_f32 v[32:33], v[10:11], v[0:1] op_sel:[0,1]
	v_pk_mul_f32 v[28:29], v[14:15], v[0:1] op_sel:[0,1]
	;; [unrolled: 1-line block ×3, first 2 shown]
	v_pk_fma_f32 v[40:41], v[10:11], v[0:1], v[32:33] op_sel:[0,0,1] op_sel_hi:[1,1,0] neg_lo:[0,0,1] neg_hi:[0,0,1]
	v_pk_fma_f32 v[10:11], v[10:11], v[0:1], v[32:33] op_sel:[0,0,1] op_sel_hi:[1,0,0]
	v_pk_mul_f32 v[32:33], v[24:25], v[16:17] op_sel_hi:[1,0]
	v_pk_fma_f32 v[34:35], v[14:15], v[0:1], v[28:29] op_sel:[0,0,1] op_sel_hi:[1,1,0] neg_lo:[0,0,1] neg_hi:[0,0,1]
	v_pk_fma_f32 v[14:15], v[14:15], v[0:1], v[28:29] op_sel:[0,0,1] op_sel_hi:[1,0,0]
	v_pk_mul_f32 v[28:29], v[18:19], v[16:17] op_sel_hi:[1,0]
	;; [unrolled: 3-line block ×3, first 2 shown]
	v_mov_b32_e32 v41, v11
	v_pk_fma_f32 v[10:11], v[24:25], v[2:3], v[32:33] op_sel:[0,0,1] op_sel_hi:[1,1,0] neg_lo:[0,0,1] neg_hi:[0,0,1]
	v_pk_fma_f32 v[24:25], v[24:25], v[2:3], v[32:33] op_sel:[0,0,1] op_sel_hi:[1,0,0]
	v_mov_b32_e32 v35, v15
	v_pk_fma_f32 v[14:15], v[18:19], v[2:3], v[28:29] op_sel:[0,0,1] op_sel_hi:[1,1,0] neg_lo:[0,0,1] neg_hi:[0,0,1]
	v_pk_fma_f32 v[18:19], v[18:19], v[2:3], v[28:29] op_sel:[0,0,1] op_sel_hi:[1,0,0]
	;; [unrolled: 3-line block ×3, first 2 shown]
	v_mov_b32_e32 v11, v25
	v_pk_add_f32 v[24:25], v[4:5], v[40:41]
	v_mov_b32_e32 v15, v19
	v_pk_add_f32 v[18:19], v[8:9], v[34:35]
	;; [unrolled: 2-line block ×3, first 2 shown]
	v_pk_add_f32 v[24:25], v[24:25], v[10:11]
	v_pk_add_f32 v[28:29], v[40:41], v[10:11]
	v_pk_add_f32 v[10:11], v[40:41], v[10:11] neg_lo:[0,1] neg_hi:[0,1]
	v_pk_add_f32 v[18:19], v[18:19], v[14:15]
	v_pk_add_f32 v[26:27], v[26:27], v[12:13]
	;; [unrolled: 1-line block ×3, first 2 shown]
	v_pk_add_f32 v[12:13], v[36:37], v[12:13] neg_lo:[0,1] neg_hi:[0,1]
	v_pk_add_f32 v[32:33], v[34:35], v[14:15]
	v_pk_add_f32 v[14:15], v[34:35], v[14:15] neg_lo:[0,1] neg_hi:[0,1]
	v_pk_fma_f32 v[4:5], v[28:29], 0.5, v[4:5] op_sel_hi:[1,0,1] neg_lo:[1,0,0] neg_hi:[1,0,0]
	v_pk_mul_f32 v[10:11], v[10:11], s[2:3] op_sel_hi:[1,0]
	v_pk_fma_f32 v[6:7], v[30:31], 0.5, v[6:7] op_sel_hi:[1,0,1] neg_lo:[1,0,0] neg_hi:[1,0,0]
	v_pk_mul_f32 v[12:13], v[12:13], s[2:3] op_sel_hi:[1,0]
	;; [unrolled: 2-line block ×3, first 2 shown]
	v_pk_add_f32 v[28:29], v[4:5], v[10:11] op_sel:[0,1] op_sel_hi:[1,0]
	v_pk_add_f32 v[4:5], v[4:5], v[10:11] op_sel:[0,1] op_sel_hi:[1,0] neg_lo:[0,1] neg_hi:[0,1]
	v_pk_add_f32 v[10:11], v[6:7], v[12:13] op_sel:[0,1] op_sel_hi:[1,0]
	v_pk_add_f32 v[6:7], v[6:7], v[12:13] op_sel:[0,1] op_sel_hi:[1,0] neg_lo:[0,1] neg_hi:[0,1]
	;; [unrolled: 2-line block ×3, first 2 shown]
	v_mov_b32_e32 v14, v28
	v_mov_b32_e32 v15, v5
	s_movk_i32 s3, 0xab
	v_mov_b32_e32 v5, v29
	v_mov_b32_e32 v28, v10
	;; [unrolled: 1-line block ×6, first 2 shown]
	ds_write2_b64 v188, v[24:25], v[14:15] offset1:8
	ds_write_b64 v188, v[4:5] offset:128
	ds_write2_b64 v187, v[26:27], v[28:29] offset1:8
	ds_write_b64 v187, v[6:7] offset:128
	ds_write2_b64 v186, v[18:19], v[10:11] offset1:8
	v_mul_lo_u16_sdwa v4, v58, s3 dst_sel:DWORD dst_unused:UNUSED_PAD src0_sel:BYTE_0 src1_sel:DWORD
	v_mul_lo_u16_sdwa v6, v22, s3 dst_sel:DWORD dst_unused:UNUSED_PAD src0_sel:BYTE_0 src1_sel:DWORD
	v_lshrrev_b16_e32 v88, 12, v4
	v_lshrrev_b16_e32 v90, 12, v6
	v_mul_lo_u16_e32 v4, 24, v88
	v_mul_lo_u16_e32 v6, 24, v90
	v_sub_u16_e32 v89, v58, v4
	v_mov_b32_e32 v4, 4
	v_sub_u16_e32 v91, v22, v6
	v_mov_b32_e32 v9, v13
	v_lshlrev_b32_sdwa v5, v4, v89 dst_sel:DWORD dst_unused:UNUSED_PAD src0_sel:DWORD src1_sel:BYTE_0
	v_lshlrev_b32_sdwa v4, v4, v91 dst_sel:DWORD dst_unused:UNUSED_PAD src0_sel:DWORD src1_sel:BYTE_0
	s_mov_b32 s3, 0xaaab
	ds_write_b64 v186, v[8:9] offset:128
	s_waitcnt lgkmcnt(0)
	s_barrier
	global_load_dwordx4 v[12:15], v5, s[0:1] offset:176
	global_load_dwordx4 v[8:11], v4, s[0:1] offset:176
	v_mul_u32_u24_sdwa v4, v20, s3 dst_sel:DWORD dst_unused:UNUSED_PAD src0_sel:WORD_0 src1_sel:DWORD
	v_lshrrev_b32_e32 v92, 20, v4
	v_mul_lo_u16_e32 v4, 24, v92
	v_sub_u16_e32 v93, v20, v4
	v_lshlrev_b16_e32 v16, 4, v93
	v_lshl_add_u64 v[4:5], s[0:1], 0, v[16:17]
	global_load_dwordx4 v[4:7], v[4:5], off offset:176
	ds_read2_b64 v[16:19], v21 offset0:48 offset1:136
	ds_read2_b64 v[20:23], v67 offset1:88
	ds_read2_b64 v[24:27], v42 offset0:96 offset1:184
	ds_read2_b64 v[28:31], v43 offset0:16 offset1:104
	ds_read_b64 v[32:33], v67 offset:5632
	s_waitcnt lgkmcnt(0)
	s_barrier
	s_waitcnt vmcnt(2)
	v_pk_mul_f32 v[34:35], v[18:19], v[12:13] op_sel:[0,1]
	v_mov_b32_e32 v36, v15
	v_pk_fma_f32 v[82:83], v[18:19], v[12:13], v[34:35] op_sel:[0,0,1] op_sel_hi:[1,1,0] neg_lo:[0,0,1] neg_hi:[0,0,1]
	v_pk_fma_f32 v[18:19], v[18:19], v[12:13], v[34:35] op_sel:[0,0,1] op_sel_hi:[1,0,0]
	v_pk_mul_f32 v[34:35], v[28:29], v[36:37] op_sel_hi:[1,0]
	s_waitcnt vmcnt(1)
	v_pk_mul_f32 v[40:41], v[24:25], v[8:9] op_sel_hi:[1,0]
	v_pk_mul_f32 v[42:43], v[30:31], v[10:11] op_sel_hi:[1,0]
	v_mov_b32_e32 v44, v11
	s_waitcnt vmcnt(0)
	v_pk_mul_f32 v[46:47], v[26:27], v[4:5] op_sel_hi:[1,0]
	v_mov_b32_e32 v48, v5
	v_pk_mul_f32 v[50:51], v[32:33], v[6:7] op_sel_hi:[1,0]
	v_mov_b32_e32 v52, v7
	v_mov_b32_e32 v54, v7
	;; [unrolled: 1-line block ×3, first 2 shown]
	v_pk_fma_f32 v[18:19], v[28:29], v[14:15], v[34:35] op_sel:[0,0,1] op_sel_hi:[1,1,0] neg_lo:[0,0,1] neg_hi:[0,0,1]
	v_pk_fma_f32 v[28:29], v[28:29], v[14:15], v[34:35] op_sel:[0,0,1] op_sel_hi:[1,0,0]
	v_pk_fma_f32 v[36:37], v[24:25], v[8:9], v[40:41] op_sel:[0,0,1] op_sel_hi:[1,1,0] neg_lo:[1,0,0] neg_hi:[1,0,0]
	v_pk_fma_f32 v[24:25], v[24:25], v[8:9], v[40:41] op_sel:[0,1,1] op_sel_hi:[1,1,0]
	;; [unrolled: 2-line block ×3, first 2 shown]
	v_pk_fma_f32 v[42:43], v[26:27], v[48:49], v[46:47] op_sel:[0,0,1] op_sel_hi:[1,1,0]
	v_pk_fma_f32 v[26:27], v[26:27], v[4:5], v[46:47] op_sel:[0,1,1] op_sel_hi:[1,1,0] neg_lo:[1,0,0] neg_hi:[1,0,0]
	v_pk_fma_f32 v[44:45], v[32:33], v[52:53], v[50:51] op_sel:[0,0,1] op_sel_hi:[1,1,0]
	v_pk_fma_f32 v[32:33], v[32:33], v[54:55], v[50:51] op_sel:[0,0,1] op_sel_hi:[1,0,0] neg_lo:[1,0,0] neg_hi:[1,0,0]
	v_mov_b32_e32 v19, v29
	v_pk_add_f32 v[28:29], v[20:21], v[82:83]
	v_mov_b32_e32 v25, v37
	v_mov_b32_e32 v31, v41
	;; [unrolled: 1-line block ×12, first 2 shown]
	v_pk_add_f32 v[40:41], v[28:29], v[18:19]
	v_pk_add_f32 v[28:29], v[82:83], v[18:19]
	v_pk_add_f32 v[18:19], v[82:83], v[18:19] neg_lo:[0,1] neg_hi:[0,1]
	v_pk_add_f32 v[46:47], v[34:35], v[36:37]
	v_pk_add_f32 v[24:25], v[24:25], v[30:31] neg_lo:[0,1] neg_hi:[0,1]
	v_pk_add_f32 v[30:31], v[22:23], v[34:35]
	v_pk_add_f32 v[34:35], v[26:27], v[32:33]
	v_pk_fma_f32 v[20:21], v[28:29], 0.5, v[20:21] op_sel_hi:[1,0,1] neg_lo:[1,0,0] neg_hi:[1,0,0]
	v_pk_mul_f32 v[18:19], v[18:19], s[2:3] op_sel_hi:[1,0]
	v_pk_fma_f32 v[22:23], v[46:47], 0.5, v[22:23] op_sel_hi:[1,0,1] neg_lo:[1,0,0] neg_hi:[1,0,0]
	v_pk_add_f32 v[52:53], v[20:21], v[18:19] op_sel:[0,1] op_sel_hi:[1,0] neg_lo:[0,1] neg_hi:[0,1]
	v_pk_add_f32 v[86:87], v[18:19], v[20:21] op_sel:[1,0] op_sel_hi:[0,1]
	v_pk_fma_f32 v[18:19], v[34:35], 0.5, v[16:17] op_sel_hi:[1,0,1] neg_lo:[1,0,0] neg_hi:[1,0,0]
	v_pk_add_f32 v[16:17], v[16:17], v[26:27]
	v_pk_fma_f32 v[46:47], v[24:25], s[2:3], v[22:23] op_sel_hi:[1,0,1] neg_lo:[1,0,0] neg_hi:[1,0,0]
	v_pk_add_f32 v[48:49], v[16:17], v[32:33]
	v_mul_u32_u24_e32 v16, 0x48, v88
	v_add_u32_sdwa v16, v16, v89 dst_sel:DWORD dst_unused:UNUSED_PAD src0_sel:DWORD src1_sel:BYTE_0
	v_lshl_add_u32 v189, v16, 3, v170
	v_mov_b32_e32 v16, v86
	v_mov_b32_e32 v17, v53
	ds_write2_b64 v189, v[40:41], v[16:17] offset1:24
	v_mov_b32_e32 v16, v52
	v_mov_b32_e32 v17, v87
	ds_write_b64 v189, v[16:17] offset:384
	v_mul_u32_u24_e32 v16, 0x48, v90
	v_pk_fma_f32 v[84:85], v[24:25], s[2:3], v[22:23] op_sel_hi:[1,0,1]
	v_add_u32_sdwa v16, v16, v91 dst_sel:DWORD dst_unused:UNUSED_PAD src0_sel:DWORD src1_sel:BYTE_0
	v_pk_add_f32 v[54:55], v[30:31], v[36:37]
	v_pk_add_f32 v[20:21], v[42:43], v[44:45] neg_lo:[0,1] neg_hi:[0,1]
	v_lshl_add_u32 v190, v16, 3, v170
	v_mov_b32_e32 v16, v84
	v_mov_b32_e32 v17, v47
	v_pk_fma_f32 v[36:37], v[20:21], s[2:3], v[18:19] op_sel_hi:[1,0,1] neg_lo:[1,0,0] neg_hi:[1,0,0]
	v_pk_fma_f32 v[82:83], v[20:21], s[2:3], v[18:19] op_sel_hi:[1,0,1]
	s_movk_i32 s2, 0x48
	ds_write2_b64 v190, v[54:55], v[16:17] offset1:24
	v_mov_b32_e32 v16, v46
	v_mov_b32_e32 v17, v85
	ds_write_b64 v190, v[16:17] offset:384
	v_mad_legacy_u16 v16, v92, s2, v93
	v_lshl_add_u32 v191, v16, 3, v170
	v_mov_b32_e32 v16, v82
	v_mov_b32_e32 v17, v37
	ds_write2_b64 v191, v[48:49], v[16:17] offset1:24
	v_mov_b32_e32 v16, v36
	v_mov_b32_e32 v17, v83
	v_cmp_gt_u16_e64 s[2:3], s2, v58
	ds_write_b64 v191, v[16:17] offset:384
	s_waitcnt lgkmcnt(0)
	s_barrier
	s_and_saveexec_b64 s[14:15], s[4:5]
	s_xor_b64 s[14:15], exec, s[14:15]
	s_or_saveexec_b64 s[14:15], s[14:15]
                                        ; implicit-def: $vgpr88
                                        ; implicit-def: $vgpr42
	s_xor_b64 exec, exec, s[14:15]
	s_cbranch_execz .LBB0_17
; %bb.16:
	v_add_u32_e32 v16, 0x800, v67
	v_add_u32_e32 v17, 0x1000, v67
	ds_read2_b64 v[40:43], v67 offset1:72
	ds_read2_b64 v[48:51], v16 offset0:176 offset1:248
	ds_read2_b64 v[36:39], v17 offset0:64 offset1:136
	;; [unrolled: 1-line block ×4, first 2 shown]
	ds_read_b64 v[88:89], v67 offset:5760
	s_waitcnt lgkmcnt(3)
	v_mov_b32_e32 v83, v37
	s_waitcnt lgkmcnt(2)
	v_mov_b32_e32 v84, v44
	v_mov_b32_e32 v82, v50
	;; [unrolled: 1-line block ×4, first 2 shown]
	s_waitcnt lgkmcnt(1)
	v_mov_b32_e32 v87, v53
	v_mov_b32_e32 v37, v51
	;; [unrolled: 1-line block ×4, first 2 shown]
	s_waitcnt lgkmcnt(0)
	v_mov_b32_e32 v42, v89
.LBB0_17:
	s_or_b64 exec, exec, s[14:15]
	v_add_u32_e32 v16, 0xffffffb8, v58
	v_cndmask_b32_e64 v16, v16, v58, s[2:3]
	v_mul_hi_i32_i24_e32 v17, 0x50, v16
	v_mul_i32_i24_e32 v16, 0x50, v16
	v_lshl_add_u64 v[44:45], s[0:1], 0, v[16:17]
	global_load_dwordx4 v[16:19], v[44:45], off offset:560
	global_load_dwordx4 v[24:27], v[44:45], off offset:576
	;; [unrolled: 1-line block ×5, first 2 shown]
	s_mov_b32 s24, 0xbf0a6770
	s_mov_b32 s0, 0x3f575c64
	;; [unrolled: 1-line block ×13, first 2 shown]
	s_waitcnt vmcnt(4)
	v_pk_mul_f32 v[44:45], v[52:53], v[16:17] op_sel:[1,0]
	v_pk_mul_f32 v[90:91], v[86:87], v[18:19] op_sel:[1,0]
	s_waitcnt vmcnt(3)
	v_pk_mul_f32 v[92:93], v[54:55], v[24:25] op_sel:[1,0]
	v_pk_mul_f32 v[94:95], v[46:47], v[26:27] op_sel:[1,0]
	s_waitcnt vmcnt(2)
	v_pk_mul_f32 v[98:99], v[48:49], v[22:23] op_sel:[1,0]
	s_waitcnt vmcnt(1)
	;; [unrolled: 2-line block ×3, first 2 shown]
	v_pk_mul_f32 v[42:43], v[42:43], v[34:35] op_sel_hi:[0,1]
	v_pk_mul_f32 v[102:103], v[82:83], v[30:31] op_sel:[1,0]
	v_pk_mul_f32 v[104:105], v[38:39], v[32:33] op_sel:[1,0]
	v_pk_fma_f32 v[50:51], v[86:87], v[16:17], v[44:45] op_sel:[0,0,1] op_sel_hi:[1,1,0] neg_lo:[0,0,1] neg_hi:[0,0,1]
	v_pk_fma_f32 v[44:45], v[86:87], v[16:17], v[44:45] op_sel:[0,0,1] op_sel_hi:[0,1,0]
	v_pk_fma_f32 v[86:87], v[52:53], v[18:19], v[90:91] op_sel:[0,0,1] op_sel_hi:[1,1,0] neg_lo:[0,0,1] neg_hi:[0,0,1]
	v_pk_fma_f32 v[52:53], v[52:53], v[18:19], v[90:91] op_sel:[0,0,1] op_sel_hi:[0,1,0]
	;; [unrolled: 2-line block ×7, first 2 shown]
	v_pk_mul_f32 v[96:97], v[84:85], v[20:21] op_sel:[1,0]
	v_pk_fma_f32 v[98:99], v[38:39], v[32:33], v[104:105] op_sel:[0,0,1] op_sel_hi:[1,1,0] neg_lo:[0,0,1] neg_hi:[0,0,1]
	v_pk_fma_f32 v[38:39], v[38:39], v[32:33], v[104:105] op_sel:[0,0,1] op_sel_hi:[0,1,0]
	v_mov_b32_e32 v51, v45
	v_mov_b32_e32 v101, v43
	v_pk_fma_f32 v[84:85], v[46:47], v[20:21], v[96:97] op_sel:[0,0,1] op_sel_hi:[1,1,0] neg_lo:[0,0,1] neg_hi:[0,0,1]
	v_pk_fma_f32 v[46:47], v[46:47], v[20:21], v[96:97] op_sel:[0,0,1] op_sel_hi:[0,1,0]
	v_pk_fma_f32 v[96:97], v[36:37], v[30:31], v[102:103] op_sel:[0,0,1] op_sel_hi:[1,1,0] neg_lo:[0,0,1] neg_hi:[0,0,1]
	v_pk_fma_f32 v[36:37], v[36:37], v[30:31], v[102:103] op_sel:[0,0,1] op_sel_hi:[0,1,0]
	v_mov_b32_e32 v87, v53
	v_mov_b32_e32 v99, v39
	v_pk_add_f32 v[120:121], v[50:51], v[100:101] neg_lo:[0,1] neg_hi:[0,1]
	v_mov_b32_e32 v91, v55
	v_mov_b32_e32 v85, v47
	;; [unrolled: 1-line block ×3, first 2 shown]
	v_pk_add_f32 v[44:45], v[50:51], v[100:101]
	v_pk_add_f32 v[122:123], v[86:87], v[98:99] neg_lo:[0,1] neg_hi:[0,1]
	v_pk_mul_f32 v[46:47], v[120:121], s[24:25] op_sel:[1,0] op_sel_hi:[0,0]
	v_mov_b32_e32 v93, v107
	v_mov_b32_e32 v49, v83
	v_pk_add_f32 v[42:43], v[86:87], v[98:99]
	v_pk_add_f32 v[124:125], v[90:91], v[96:97] neg_lo:[0,1] neg_hi:[0,1]
	v_pk_mul_f32 v[52:53], v[122:123], s[28:29] op_sel:[1,0] op_sel_hi:[0,0]
	v_pk_fma_f32 v[114:115], v[44:45], s[0:1], v[46:47] op_sel_hi:[1,0,1]
	v_pk_fma_f32 v[116:117], v[44:45], s[0:1], v[46:47] op_sel_hi:[1,0,1] neg_lo:[0,0,1] neg_hi:[0,0,1]
	v_pk_add_f32 v[38:39], v[90:91], v[96:97]
	v_pk_add_f32 v[126:127], v[92:93], v[48:49] neg_lo:[0,1] neg_hi:[0,1]
	v_pk_mul_f32 v[54:55], v[124:125], s[22:23] op_sel:[1,0] op_sel_hi:[0,0]
	v_pk_fma_f32 v[110:111], v[42:43], s[14:15], v[52:53] op_sel_hi:[1,0,1]
	v_pk_fma_f32 v[112:113], v[42:43], s[14:15], v[52:53] op_sel_hi:[1,0,1] neg_lo:[0,0,1] neg_hi:[0,0,1]
	v_mov_b32_e32 v46, v114
	v_mov_b32_e32 v47, v117
	;; [unrolled: 1-line block ×3, first 2 shown]
	v_pk_add_f32 v[36:37], v[92:93], v[48:49]
	v_pk_mul_f32 v[82:83], v[126:127], s[26:27] op_sel:[1,0] op_sel_hi:[0,0]
	v_pk_mul_f32 v[88:89], v[120:121], s[28:29] op_sel:[1,0] op_sel_hi:[0,0]
	v_pk_fma_f32 v[106:107], v[38:39], s[18:19], v[54:55] op_sel_hi:[1,0,1]
	v_pk_fma_f32 v[108:109], v[38:39], s[18:19], v[54:55] op_sel_hi:[1,0,1] neg_lo:[0,0,1] neg_hi:[0,0,1]
	v_mov_b32_e32 v52, v110
	v_mov_b32_e32 v53, v113
	v_pk_add_f32 v[46:47], v[40:41], v[46:47]
	v_pk_mul_f32 v[118:119], v[122:123], s[26:27] op_sel:[1,0] op_sel_hi:[0,0]
	v_pk_fma_f32 v[102:103], v[36:37], s[20:21], v[82:83] op_sel_hi:[1,0,1]
	v_pk_fma_f32 v[104:105], v[36:37], s[20:21], v[82:83] op_sel_hi:[1,0,1] neg_lo:[0,0,1] neg_hi:[0,0,1]
	v_pk_fma_f32 v[134:135], v[44:45], s[14:15], v[88:89] op_sel_hi:[1,0,1]
	v_pk_fma_f32 v[88:89], v[44:45], s[14:15], v[88:89] op_sel_hi:[1,0,1] neg_lo:[0,0,1] neg_hi:[0,0,1]
	v_mov_b32_e32 v54, v106
	v_mov_b32_e32 v55, v109
	v_pk_add_f32 v[46:47], v[52:53], v[46:47]
	v_mov_b32_e32 v82, v102
	v_mov_b32_e32 v83, v105
	;; [unrolled: 1-line block ×3, first 2 shown]
	v_pk_add_f32 v[46:47], v[54:55], v[46:47]
	v_mov_b32_e32 v129, v89
	v_pk_fma_f32 v[136:137], v[42:43], s[20:21], v[118:119] op_sel_hi:[1,0,1]
	v_pk_fma_f32 v[118:119], v[42:43], s[20:21], v[118:119] op_sel_hi:[1,0,1] neg_lo:[0,0,1] neg_hi:[0,0,1]
	v_pk_add_f32 v[52:53], v[82:83], v[46:47]
	v_pk_add_f32 v[46:47], v[40:41], v[128:129]
	v_mov_b32_e32 v54, v136
	v_mov_b32_e32 v55, v119
	v_pk_add_f32 v[54:55], v[54:55], v[46:47]
	s_mov_b32 s28, 0xbf75a155
	v_pk_mul_f32 v[46:47], v[124:125], s[30:31] op_sel:[1,0] op_sel_hi:[0,0]
	v_pk_fma_f32 v[138:139], v[38:39], s[28:29], v[46:47] op_sel_hi:[1,0,1]
	v_pk_fma_f32 v[128:129], v[38:39], s[28:29], v[46:47] op_sel_hi:[1,0,1] neg_lo:[0,0,1] neg_hi:[0,0,1]
	v_pk_mul_f32 v[46:47], v[120:121], s[22:23] op_sel:[1,0] op_sel_hi:[0,0]
	v_pk_mul_f32 v[82:83], v[122:123], s[30:31] op_sel:[1,0] op_sel_hi:[0,0]
	v_pk_fma_f32 v[150:151], v[44:45], s[18:19], v[46:47] op_sel_hi:[1,0,1]
	v_pk_fma_f32 v[130:131], v[44:45], s[18:19], v[46:47] op_sel_hi:[1,0,1] neg_lo:[0,0,1] neg_hi:[0,0,1]
	v_mov_b32_e32 v46, v150
	v_mov_b32_e32 v47, v131
	v_pk_fma_f32 v[152:153], v[42:43], s[28:29], v[82:83] op_sel_hi:[1,0,1]
	v_pk_fma_f32 v[132:133], v[42:43], s[28:29], v[82:83] op_sel_hi:[1,0,1] neg_lo:[0,0,1] neg_hi:[0,0,1]
	v_pk_add_f32 v[46:47], v[40:41], v[46:47]
	v_mov_b32_e32 v82, v152
	v_mov_b32_e32 v83, v133
	v_pk_add_f32 v[162:163], v[84:85], v[94:95] neg_lo:[0,1] neg_hi:[0,1]
	v_pk_add_f32 v[146:147], v[82:83], v[46:47]
	v_pk_add_f32 v[46:47], v[84:85], v[94:95]
	v_pk_mul_f32 v[82:83], v[162:163], s[36:37] op_sel:[1,0] op_sel_hi:[0,0]
	v_pk_fma_f32 v[142:143], v[46:47], s[28:29], v[82:83] op_sel_hi:[1,0,1]
	v_pk_fma_f32 v[144:145], v[46:47], s[28:29], v[82:83] op_sel_hi:[1,0,1] neg_lo:[0,0,1] neg_hi:[0,0,1]
	v_pk_mul_f32 v[140:141], v[124:125], s[34:35] op_sel:[1,0] op_sel_hi:[0,0]
	v_mov_b32_e32 v82, v142
	v_mov_b32_e32 v83, v145
	v_pk_add_f32 v[82:83], v[82:83], v[52:53]
	v_mov_b32_e32 v52, v138
	v_mov_b32_e32 v53, v129
	v_pk_fma_f32 v[166:167], v[38:39], s[14:15], v[140:141] op_sel_hi:[1,0,1]
	v_pk_fma_f32 v[140:141], v[38:39], s[14:15], v[140:141] op_sel_hi:[1,0,1] neg_lo:[0,0,1] neg_hi:[0,0,1]
	v_pk_add_f32 v[52:53], v[52:53], v[54:55]
	v_mov_b32_e32 v54, v166
	v_mov_b32_e32 v55, v141
	v_pk_add_f32 v[54:55], v[54:55], v[146:147]
	v_pk_mul_f32 v[146:147], v[126:127], s[40:41] op_sel:[1,0] op_sel_hi:[0,0]
	v_pk_fma_f32 v[164:165], v[36:37], s[18:19], v[146:147] op_sel_hi:[1,0,1]
	v_pk_fma_f32 v[148:149], v[36:37], s[18:19], v[146:147] op_sel_hi:[1,0,1] neg_lo:[0,0,1] neg_hi:[0,0,1]
	v_mov_b32_e32 v146, v164
	v_mov_b32_e32 v147, v149
	v_pk_add_f32 v[52:53], v[146:147], v[52:53]
	v_pk_mul_f32 v[146:147], v[126:127], s[24:25] op_sel:[1,0] op_sel_hi:[0,0]
	v_pk_fma_f32 v[168:169], v[36:37], s[0:1], v[146:147] op_sel_hi:[1,0,1]
	v_pk_fma_f32 v[146:147], v[36:37], s[0:1], v[146:147] op_sel_hi:[1,0,1] neg_lo:[0,0,1] neg_hi:[0,0,1]
	;; [unrolled: 6-line block ×3, first 2 shown]
	v_mov_b32_e32 v154, v158
	v_mov_b32_e32 v155, v161
	v_pk_mul_f32 v[156:157], v[162:163], s[26:27] op_sel:[1,0] op_sel_hi:[0,0]
	v_pk_add_f32 v[52:53], v[154:155], v[52:53]
	v_pk_fma_f32 v[154:155], v[46:47], s[20:21], v[156:157] op_sel_hi:[1,0,1]
	v_pk_fma_f32 v[156:157], v[46:47], s[20:21], v[156:157] op_sel_hi:[1,0,1] neg_lo:[0,0,1] neg_hi:[0,0,1]
	v_mov_b32_e32 v192, v154
	v_mov_b32_e32 v193, v157
	v_pk_add_f32 v[54:55], v[192:193], v[54:55]
	s_and_saveexec_b64 s[30:31], s[2:3]
	s_cbranch_execz .LBB0_19
; %bb.18:
	v_pk_add_f32 v[50:51], v[40:41], v[50:51]
	v_mov_b32_e32 v89, v135
	v_pk_add_f32 v[50:51], v[50:51], v[86:87]
	v_mov_b32_e32 v117, v115
	;; [unrolled: 2-line block ×6, first 2 shown]
	v_pk_add_f32 v[48:49], v[50:51], v[48:49]
	v_pk_add_f32 v[50:51], v[40:41], v[88:89]
	;; [unrolled: 1-line block ×5, first 2 shown]
	v_mov_b32_e32 v149, v165
	v_pk_add_f32 v[48:49], v[48:49], v[100:101]
	ds_write_b64 v67, v[48:49]
	v_pk_add_f32 v[48:49], v[40:41], v[116:117]
	v_mov_b32_e32 v105, v103
	v_pk_add_f32 v[48:49], v[112:113], v[48:49]
	v_pk_add_f32 v[50:51], v[128:129], v[50:51]
	;; [unrolled: 1-line block ×3, first 2 shown]
	v_mov_b32_e32 v145, v143
	v_pk_add_f32 v[48:49], v[104:105], v[48:49]
	v_pk_add_f32 v[50:51], v[148:149], v[50:51]
	v_mov_b32_e32 v161, v159
	v_mov_b32_e32 v192, v121
	;; [unrolled: 1-line block ×3, first 2 shown]
	v_lshl_add_u32 v114, v58, 3, v170
	v_pk_add_f32 v[48:49], v[144:145], v[48:49]
	v_pk_add_f32 v[50:51], v[160:161], v[50:51]
	v_mov_b32_e32 v120, v123
	v_mov_b32_e32 v121, v122
	ds_write2_b64 v114, v[48:49], v[50:51] offset0:72 offset1:144
	v_pk_mul_f32 v[50:51], v[192:193], s[26:27] op_sel_hi:[1,0]
	v_pk_mul_f32 v[88:89], v[120:121], s[40:41] op_sel_hi:[1,0]
	v_pk_fma_f32 v[84:85], v[44:45], s[20:21], v[50:51] op_sel_hi:[1,0,1] neg_lo:[0,0,1] neg_hi:[0,0,1]
	v_pk_fma_f32 v[50:51], v[44:45], s[20:21], v[50:51] op_sel_hi:[1,0,1]
	v_mov_b32_e32 v86, v84
	v_mov_b32_e32 v87, v51
	v_pk_fma_f32 v[90:91], v[42:43], s[18:19], v[88:89] op_sel_hi:[1,0,1] neg_lo:[0,0,1] neg_hi:[0,0,1]
	v_pk_fma_f32 v[88:89], v[42:43], s[18:19], v[88:89] op_sel_hi:[1,0,1]
	v_mov_b32_e32 v122, v125
	v_mov_b32_e32 v123, v124
	v_pk_add_f32 v[86:87], v[40:41], v[86:87]
	v_mov_b32_e32 v92, v90
	v_mov_b32_e32 v93, v89
	v_pk_add_f32 v[86:87], v[92:93], v[86:87]
	v_pk_mul_f32 v[92:93], v[122:123], s[24:25] op_sel_hi:[1,0]
	v_mov_b32_e32 v124, v127
	v_pk_fma_f32 v[94:95], v[38:39], s[0:1], v[92:93] op_sel_hi:[1,0,1] neg_lo:[0,0,1] neg_hi:[0,0,1]
	v_pk_fma_f32 v[92:93], v[38:39], s[0:1], v[92:93] op_sel_hi:[1,0,1]
	v_mov_b32_e32 v125, v126
	v_mov_b32_e32 v96, v94
	;; [unrolled: 1-line block ×3, first 2 shown]
	v_pk_add_f32 v[86:87], v[96:97], v[86:87]
	v_pk_mul_f32 v[96:97], v[124:125], s[36:37] op_sel_hi:[1,0]
	v_mov_b32_e32 v131, v151
	v_pk_fma_f32 v[98:99], v[36:37], s[28:29], v[96:97] op_sel_hi:[1,0,1] neg_lo:[0,0,1] neg_hi:[0,0,1]
	v_pk_fma_f32 v[96:97], v[36:37], s[28:29], v[96:97] op_sel_hi:[1,0,1]
	v_mov_b32_e32 v126, v163
	v_mov_b32_e32 v127, v162
	v_mov_b32_e32 v133, v153
	v_pk_add_f32 v[48:49], v[40:41], v[130:131]
	v_mov_b32_e32 v100, v98
	v_mov_b32_e32 v101, v97
	;; [unrolled: 1-line block ×3, first 2 shown]
	v_pk_add_f32 v[48:49], v[132:133], v[48:49]
	v_pk_add_f32 v[86:87], v[100:101], v[86:87]
	v_pk_mul_f32 v[100:101], v[126:127], s[34:35] op_sel_hi:[1,0]
	v_mov_b32_e32 v147, v169
	v_pk_add_f32 v[48:49], v[140:141], v[48:49]
	v_pk_fma_f32 v[102:103], v[46:47], s[14:15], v[100:101] op_sel_hi:[1,0,1] neg_lo:[0,0,1] neg_hi:[0,0,1]
	v_pk_fma_f32 v[100:101], v[46:47], s[14:15], v[100:101] op_sel_hi:[1,0,1]
	v_pk_add_f32 v[48:49], v[146:147], v[48:49]
	v_mov_b32_e32 v157, v155
	v_mov_b32_e32 v104, v102
	;; [unrolled: 1-line block ×3, first 2 shown]
	v_pk_add_f32 v[48:49], v[156:157], v[48:49]
	v_pk_add_f32 v[86:87], v[104:105], v[86:87]
	v_add_u32_e32 v51, 0x400, v114
	ds_write2_b64 v51, v[48:49], v[86:87] offset0:88 offset1:160
	v_pk_mul_f32 v[48:49], v[192:193], s[36:37] op_sel_hi:[1,0]
	v_pk_mul_f32 v[86:87], v[120:121], s[38:39] op_sel_hi:[1,0]
	v_pk_fma_f32 v[110:111], v[44:45], s[28:29], v[48:49] op_sel_hi:[1,0,1] neg_lo:[0,0,1] neg_hi:[0,0,1]
	v_pk_fma_f32 v[44:45], v[44:45], s[28:29], v[48:49] op_sel_hi:[1,0,1]
	v_mov_b32_e32 v48, v110
	v_mov_b32_e32 v49, v45
	v_pk_fma_f32 v[112:113], v[42:43], s[0:1], v[86:87] op_sel_hi:[1,0,1] neg_lo:[0,0,1] neg_hi:[0,0,1]
	v_pk_fma_f32 v[42:43], v[42:43], s[0:1], v[86:87] op_sel_hi:[1,0,1]
	v_pk_mul_f32 v[104:105], v[122:123], s[26:27] op_sel_hi:[1,0]
	v_pk_add_f32 v[48:49], v[40:41], v[48:49]
	v_mov_b32_e32 v86, v112
	v_mov_b32_e32 v87, v43
	v_pk_add_f32 v[48:49], v[86:87], v[48:49]
	v_pk_fma_f32 v[86:87], v[38:39], s[20:21], v[104:105] op_sel_hi:[1,0,1] neg_lo:[0,0,1] neg_hi:[0,0,1]
	v_pk_fma_f32 v[38:39], v[38:39], s[20:21], v[104:105] op_sel_hi:[1,0,1]
	v_pk_mul_f32 v[106:107], v[124:125], s[34:35] op_sel_hi:[1,0]
	v_mov_b32_e32 v104, v86
	v_mov_b32_e32 v105, v39
	;; [unrolled: 1-line block ×3, first 2 shown]
	v_pk_add_f32 v[48:49], v[104:105], v[48:49]
	v_pk_fma_f32 v[104:105], v[36:37], s[14:15], v[106:107] op_sel_hi:[1,0,1] neg_lo:[0,0,1] neg_hi:[0,0,1]
	v_pk_fma_f32 v[36:37], v[36:37], s[14:15], v[106:107] op_sel_hi:[1,0,1]
	v_pk_add_f32 v[44:45], v[40:41], v[44:45]
	v_mov_b32_e32 v43, v113
	v_pk_mul_f32 v[108:109], v[126:127], s[22:23] op_sel_hi:[1,0]
	v_mov_b32_e32 v106, v104
	v_mov_b32_e32 v107, v37
	v_pk_add_f32 v[42:43], v[42:43], v[44:45]
	v_mov_b32_e32 v39, v87
	v_pk_add_f32 v[48:49], v[106:107], v[48:49]
	v_pk_fma_f32 v[106:107], v[46:47], s[18:19], v[108:109] op_sel_hi:[1,0,1] neg_lo:[0,0,1] neg_hi:[0,0,1]
	v_pk_fma_f32 v[46:47], v[46:47], s[18:19], v[108:109] op_sel_hi:[1,0,1]
	v_pk_add_f32 v[38:39], v[38:39], v[42:43]
	v_mov_b32_e32 v37, v105
	v_mov_b32_e32 v108, v106
	;; [unrolled: 1-line block ×3, first 2 shown]
	v_pk_add_f32 v[36:37], v[36:37], v[38:39]
	v_mov_b32_e32 v47, v107
	v_pk_add_f32 v[48:49], v[108:109], v[48:49]
	v_pk_add_f32 v[36:37], v[46:47], v[36:37]
	v_add_u32_e32 v38, 0x800, v114
	v_mov_b32_e32 v51, v85
	ds_write2_b64 v38, v[48:49], v[36:37] offset0:104 offset1:176
	v_pk_add_f32 v[36:37], v[40:41], v[50:51]
	v_mov_b32_e32 v89, v91
	v_pk_add_f32 v[36:37], v[88:89], v[36:37]
	v_mov_b32_e32 v93, v95
	;; [unrolled: 2-line block ×4, first 2 shown]
	v_pk_add_f32 v[36:37], v[100:101], v[36:37]
	v_add_u32_e32 v38, 0xc00, v114
	ds_write2_b64 v38, v[36:37], v[54:55] offset0:120 offset1:192
	v_add_u32_e32 v36, 0x1000, v114
	ds_write2_b64 v36, v[52:53], v[82:83] offset0:136 offset1:208
.LBB0_19:
	s_or_b64 exec, exec, s[30:31]
	v_lshlrev_b32_e32 v36, 3, v58
	v_mov_b32_e32 v37, 0
	v_lshl_add_u64 v[38:39], s[16:17], 0, v[36:37]
	s_mov_b64 s[0:1], 0x18c0
	v_add_co_u32_e32 v40, vcc, 0x1000, v38
	v_lshl_add_u64 v[36:37], v[38:39], 0, s[0:1]
	s_nop 0
	v_addc_co_u32_e32 v41, vcc, 0, v39, vcc
	s_movk_i32 s0, 0x2000
	v_add_co_u32_e32 v38, vcc, s0, v38
	s_waitcnt lgkmcnt(0)
	s_barrier
	global_load_dwordx2 v[90:91], v[36:37], off offset:3168
	global_load_dwordx2 v[92:93], v[36:37], off offset:704
	;; [unrolled: 1-line block ×5, first 2 shown]
	v_addc_co_u32_e32 v39, vcc, 0, v39, vcc
	global_load_dwordx2 v[100:101], v[38:39], off offset:2720
	global_load_dwordx2 v[102:103], v[38:39], off offset:3424
	;; [unrolled: 1-line block ×3, first 2 shown]
	v_add_u32_e32 v38, 0x800, v67
	ds_read2_b64 v[40:43], v67 offset1:88
	ds_read2_b64 v[44:47], v38 offset0:140 offset1:228
	v_add_u32_e32 v39, 0x400, v67
	v_add_u32_e32 v84, 0x1000, v67
	ds_read2_b64 v[48:51], v39 offset0:48 offset1:136
	ds_read2_b64 v[86:89], v84 offset0:60 offset1:148
	s_waitcnt vmcnt(5) lgkmcnt(1)
	v_mul_f32_e32 v109, v49, v95
	v_mul_f32_e32 v85, v45, v91
	;; [unrolled: 1-line block ×6, first 2 shown]
	s_waitcnt vmcnt(3)
	v_mul_f32_e32 v110, v51, v99
	v_mul_f32_e32 v95, v50, v99
	;; [unrolled: 1-line block ×4, first 2 shown]
	v_fma_f32 v106, v44, v90, -v85
	v_fmac_f32_e32 v107, v45, v90
	v_fma_f32 v90, v42, v92, -v108
	v_fmac_f32_e32 v91, v43, v92
	s_waitcnt vmcnt(0)
	v_mul_f32_e32 v42, v47, v105
	v_mul_f32_e32 v43, v46, v105
	v_fma_f32 v92, v48, v94, -v109
	v_fmac_f32_e32 v93, v49, v94
	s_waitcnt lgkmcnt(0)
	v_mul_f32_e32 v44, v87, v101
	v_mul_f32_e32 v45, v86, v101
	v_fma_f32 v94, v50, v98, -v110
	v_fmac_f32_e32 v95, v51, v98
	v_mul_f32_e32 v48, v89, v103
	v_mul_f32_e32 v49, v88, v103
	v_fma_f32 v98, v40, v96, -v111
	v_fmac_f32_e32 v99, v41, v96
	v_fma_f32 v42, v46, v104, -v42
	v_fmac_f32_e32 v43, v47, v104
	;; [unrolled: 2-line block ×3, first 2 shown]
	ds_write2_b64 v39, v[92:93], v[94:95] offset0:48 offset1:136
	v_fma_f32 v48, v88, v102, -v48
	v_fmac_f32_e32 v49, v89, v102
	ds_write2_b64 v67, v[98:99], v[90:91] offset1:88
	ds_write2_b64 v38, v[106:107], v[42:43] offset0:140 offset1:228
	ds_write2_b64 v84, v[44:45], v[48:49] offset0:60 offset1:148
	s_and_saveexec_b64 s[0:1], s[6:7]
	s_cbranch_execz .LBB0_21
; %bb.20:
	global_load_dwordx2 v[40:41], v[36:37], off offset:2816
	v_add_co_u32_e32 v36, vcc, 0x1000, v36
	s_nop 1
	v_addc_co_u32_e32 v37, vcc, 0, v37, vcc
	global_load_dwordx2 v[36:37], v[36:37], off offset:1888
	ds_read_b64 v[42:43], v67 offset:2816
	ds_read_b64 v[44:45], v67 offset:5984
	s_waitcnt vmcnt(1) lgkmcnt(1)
	v_mul_f32_e32 v46, v43, v41
	v_mul_f32_e32 v47, v42, v41
	v_fma_f32 v46, v42, v40, -v46
	v_fmac_f32_e32 v47, v43, v40
	ds_write_b64 v67, v[46:47] offset:2816
	s_waitcnt vmcnt(0) lgkmcnt(1)
	v_mul_f32_e32 v40, v45, v37
	v_mul_f32_e32 v41, v44, v37
	v_fma_f32 v40, v44, v36, -v40
	v_fmac_f32_e32 v41, v45, v36
	ds_write_b64 v67, v[40:41] offset:5984
.LBB0_21:
	s_or_b64 exec, exec, s[0:1]
	s_waitcnt lgkmcnt(0)
	s_barrier
	ds_read2_b64 v[44:47], v67 offset1:88
	ds_read2_b64 v[48:51], v38 offset0:140 offset1:228
	ds_read2_b64 v[40:43], v39 offset0:48 offset1:136
	;; [unrolled: 1-line block ×3, first 2 shown]
	s_and_saveexec_b64 s[0:1], s[6:7]
	s_cbranch_execz .LBB0_23
; %bb.22:
	ds_read_b64 v[54:55], v67 offset:2816
	ds_read_b64 v[52:53], v67 offset:5984
.LBB0_23:
	s_or_b64 exec, exec, s[0:1]
	s_waitcnt lgkmcnt(2)
	v_pk_add_f32 v[86:87], v[44:45], v[48:49] neg_lo:[0,1] neg_hi:[0,1]
	v_pk_add_f32 v[48:49], v[46:47], v[50:51] neg_lo:[0,1] neg_hi:[0,1]
	s_waitcnt lgkmcnt(0)
	v_pk_add_f32 v[50:51], v[40:41], v[36:37] neg_lo:[0,1] neg_hi:[0,1]
	v_pk_add_f32 v[88:89], v[42:43], v[38:39] neg_lo:[0,1] neg_hi:[0,1]
	;; [unrolled: 1-line block ×3, first 2 shown]
	v_pk_fma_f32 v[84:85], v[44:45], 2.0, v[86:87] op_sel_hi:[1,0,1] neg_lo:[0,0,1] neg_hi:[0,0,1]
	v_pk_fma_f32 v[46:47], v[46:47], 2.0, v[48:49] op_sel_hi:[1,0,1] neg_lo:[0,0,1] neg_hi:[0,0,1]
	;; [unrolled: 1-line block ×3, first 2 shown]
	s_barrier
	ds_write_b128 v173, v[84:87]
	ds_write_b128 v175, v[46:49]
	v_pk_fma_f32 v[48:49], v[40:41], 2.0, v[50:51] op_sel_hi:[1,0,1] neg_lo:[0,0,1] neg_hi:[0,0,1]
	v_pk_fma_f32 v[86:87], v[42:43], 2.0, v[88:89] op_sel_hi:[1,0,1] neg_lo:[0,0,1] neg_hi:[0,0,1]
	ds_write_b128 v176, v[48:51]
	ds_write_b128 v177, v[86:89]
	s_and_saveexec_b64 s[0:1], s[6:7]
	s_cbranch_execz .LBB0_25
; %bb.24:
	ds_write_b128 v174, v[36:39]
.LBB0_25:
	s_or_b64 exec, exec, s[0:1]
	v_add_u32_e32 v40, 0x800, v67
	s_waitcnt lgkmcnt(0)
	s_barrier
	ds_read2_b64 v[52:55], v40 offset0:140 offset1:228
	v_add_u32_e32 v40, 0x400, v67
	v_add_u32_e32 v44, 0x1000, v67
	ds_read2_b64 v[48:51], v67 offset1:88
	ds_read2_b64 v[40:43], v40 offset0:48 offset1:136
	ds_read2_b64 v[44:47], v44 offset0:60 offset1:148
	v_mov_b32_e32 v86, v78
	v_mov_b32_e32 v87, v78
	;; [unrolled: 1-line block ×4, first 2 shown]
	s_and_saveexec_b64 s[0:1], s[6:7]
	s_cbranch_execz .LBB0_27
; %bb.26:
	ds_read_b64 v[36:37], v67 offset:2816
	ds_read_b64 v[38:39], v67 offset:5984
.LBB0_27:
	s_or_b64 exec, exec, s[0:1]
	s_waitcnt lgkmcnt(0)
	v_pk_mul_f32 v[84:85], v[78:79], v[38:39] op_sel:[0,1]
	s_nop 0
	v_pk_fma_f32 v[90:91], v[78:79], v[38:39], v[84:85] op_sel:[0,0,1] op_sel_hi:[1,1,0]
	v_pk_fma_f32 v[38:39], v[78:79], v[38:39], v[84:85] op_sel:[0,0,1] op_sel_hi:[1,0,0] neg_lo:[1,0,0] neg_hi:[1,0,0]
	s_barrier
	v_mov_b32_e32 v91, v39
	v_pk_add_f32 v[38:39], v[36:37], v[90:91] neg_lo:[0,1] neg_hi:[0,1]
	s_nop 0
	v_pk_fma_f32 v[84:85], v[36:37], 2.0, v[38:39] op_sel_hi:[1,0,1] neg_lo:[0,0,1] neg_hi:[0,0,1]
	v_pk_mul_f32 v[36:37], v[88:89], v[52:53]
	s_nop 0
	v_pk_fma_f32 v[78:79], v[86:87], v[52:53], v[36:37] op_sel:[0,0,1] op_sel_hi:[1,1,0]
	v_pk_fma_f32 v[36:37], v[86:87], v[52:53], v[36:37] op_sel:[0,0,1] op_sel_hi:[1,1,0] neg_lo:[0,0,1] neg_hi:[0,0,1]
	s_nop 0
	v_mov_b32_e32 v79, v37
	v_pk_add_f32 v[36:37], v[48:49], v[78:79] neg_lo:[0,1] neg_hi:[0,1]
	s_nop 0
	v_pk_fma_f32 v[48:49], v[48:49], 2.0, v[36:37] op_sel_hi:[1,0,1] neg_lo:[0,0,1] neg_hi:[0,0,1]
	ds_write2_b64 v182, v[48:49], v[36:37] offset1:2
	v_pk_mul_f32 v[36:37], v[88:89], v[54:55]
	s_nop 0
	v_pk_fma_f32 v[48:49], v[86:87], v[54:55], v[36:37] op_sel:[0,0,1] op_sel_hi:[1,1,0]
	v_pk_fma_f32 v[36:37], v[86:87], v[54:55], v[36:37] op_sel:[0,0,1] op_sel_hi:[1,1,0] neg_lo:[0,0,1] neg_hi:[0,0,1]
	s_nop 0
	v_mov_b32_e32 v49, v37
	v_pk_add_f32 v[36:37], v[50:51], v[48:49] neg_lo:[0,1] neg_hi:[0,1]
	s_nop 0
	v_pk_fma_f32 v[48:49], v[50:51], 2.0, v[36:37] op_sel_hi:[1,0,1] neg_lo:[0,0,1] neg_hi:[0,0,1]
	ds_write2_b64 v180, v[48:49], v[36:37] offset1:2
	;; [unrolled: 10-line block ×4, first 2 shown]
	s_and_saveexec_b64 s[0:1], s[6:7]
	s_cbranch_execz .LBB0_29
; %bb.28:
	s_movk_i32 s14, 0x3fc
	v_and_or_b32 v36, v59, s14, v171
	v_lshl_add_u32 v36, v36, 3, v170
	ds_write2_b64 v36, v[84:85], v[38:39] offset1:2
.LBB0_29:
	s_or_b64 exec, exec, s[0:1]
	v_add_u32_e32 v36, 0x800, v67
	s_waitcnt lgkmcnt(0)
	s_barrier
	ds_read2_b64 v[52:55], v36 offset0:140 offset1:228
	v_add_u32_e32 v36, 0x400, v67
	ds_read2_b64 v[40:43], v36 offset0:48 offset1:136
	v_add_u32_e32 v36, 0x1000, v67
	ds_read2_b64 v[48:51], v67 offset1:88
	ds_read2_b64 v[44:47], v36 offset0:60 offset1:148
	v_mov_b32_e32 v90, v80
	v_mov_b32_e32 v91, v80
	;; [unrolled: 1-line block ×4, first 2 shown]
	s_and_saveexec_b64 s[0:1], s[6:7]
	s_cbranch_execz .LBB0_31
; %bb.30:
	ds_read_b64 v[84:85], v67 offset:2816
	ds_read_b64 v[38:39], v67 offset:5984
.LBB0_31:
	s_or_b64 exec, exec, s[0:1]
	s_waitcnt lgkmcnt(0)
	v_pk_mul_f32 v[94:95], v[80:81], v[38:39] op_sel:[0,1]
	s_nop 0
	v_pk_fma_f32 v[96:97], v[80:81], v[38:39], v[94:95] op_sel:[0,0,1] op_sel_hi:[1,1,0]
	v_pk_fma_f32 v[38:39], v[80:81], v[38:39], v[94:95] op_sel:[0,0,1] op_sel_hi:[1,0,0] neg_lo:[1,0,0] neg_hi:[1,0,0]
	v_pk_mul_f32 v[80:81], v[92:93], v[52:53]
	s_barrier
	v_pk_fma_f32 v[94:95], v[90:91], v[52:53], v[80:81] op_sel:[0,0,1] op_sel_hi:[1,1,0]
	v_pk_fma_f32 v[52:53], v[90:91], v[52:53], v[80:81] op_sel:[0,0,1] op_sel_hi:[1,1,0] neg_lo:[0,0,1] neg_hi:[0,0,1]
	s_nop 0
	v_mov_b32_e32 v95, v53
	v_pk_add_f32 v[52:53], v[48:49], v[94:95] neg_lo:[0,1] neg_hi:[0,1]
	v_mov_b32_e32 v97, v39
	v_pk_fma_f32 v[48:49], v[48:49], 2.0, v[52:53] op_sel_hi:[1,0,1] neg_lo:[0,0,1] neg_hi:[0,0,1]
	ds_write2_b64 v185, v[48:49], v[52:53] offset1:4
	v_pk_mul_f32 v[48:49], v[92:93], v[54:55]
	v_mov_b32_e32 v88, v0
	v_pk_fma_f32 v[52:53], v[90:91], v[54:55], v[48:49] op_sel:[0,0,1] op_sel_hi:[1,1,0]
	v_pk_fma_f32 v[48:49], v[90:91], v[54:55], v[48:49] op_sel:[0,0,1] op_sel_hi:[1,1,0] neg_lo:[0,0,1] neg_hi:[0,0,1]
	v_mov_b32_e32 v89, v0
	v_mov_b32_e32 v53, v49
	v_pk_add_f32 v[48:49], v[50:51], v[52:53] neg_lo:[0,1] neg_hi:[0,1]
	v_mov_b32_e32 v0, v1
	v_pk_fma_f32 v[50:51], v[50:51], 2.0, v[48:49] op_sel_hi:[1,0,1] neg_lo:[0,0,1] neg_hi:[0,0,1]
	ds_write2_b64 v184, v[50:51], v[48:49] offset1:4
	v_pk_mul_f32 v[48:49], v[92:93], v[44:45]
	v_mov_b32_e32 v86, v2
	v_pk_fma_f32 v[50:51], v[90:91], v[44:45], v[48:49] op_sel:[0,0,1] op_sel_hi:[1,1,0]
	v_pk_fma_f32 v[44:45], v[90:91], v[44:45], v[48:49] op_sel:[0,0,1] op_sel_hi:[1,1,0] neg_lo:[0,0,1] neg_hi:[0,0,1]
	v_mov_b32_e32 v87, v2
	;; [unrolled: 10-line block ×3, first 2 shown]
	v_mov_b32_e32 v45, v41
	v_pk_add_f32 v[40:41], v[42:43], v[44:45] neg_lo:[0,1] neg_hi:[0,1]
	v_mov_b32_e32 v4, v5
	v_mov_b32_e32 v36, v6
	v_mov_b32_e32 v37, v6
	v_mov_b32_e32 v6, v7
	v_pk_add_f32 v[38:39], v[84:85], v[96:97] neg_lo:[0,1] neg_hi:[0,1]
	v_pk_fma_f32 v[42:43], v[42:43], 2.0, v[40:41] op_sel_hi:[1,0,1] neg_lo:[0,0,1] neg_hi:[0,0,1]
	ds_write2_b64 v181, v[42:43], v[40:41] offset1:4
	s_and_saveexec_b64 s[0:1], s[6:7]
	s_cbranch_execz .LBB0_33
; %bb.32:
	s_movk_i32 s14, 0x3f8
	v_and_or_b32 v40, v59, s14, v172
	v_lshl_add_u32 v42, v40, 3, v170
	v_pk_fma_f32 v[40:41], v[84:85], 2.0, v[38:39] op_sel_hi:[1,0,1] neg_lo:[0,0,1] neg_hi:[0,0,1]
	ds_write2_b64 v42, v[40:41], v[38:39] offset1:4
.LBB0_33:
	s_or_b64 exec, exec, s[0:1]
	v_add_u32_e32 v59, 0x800, v67
	s_waitcnt lgkmcnt(0)
	s_barrier
	ds_read2_b64 v[40:43], v59 offset0:96 offset1:184
	v_add_u32_e32 v94, 0x400, v67
	ds_read2_b64 v[44:47], v94 offset0:48 offset1:136
	ds_read_b64 v[48:49], v67 offset:5632
	v_add_u32_e32 v95, 0x1000, v67
	ds_read2_b64 v[52:55], v95 offset0:16 offset1:104
	s_waitcnt lgkmcnt(3)
	v_pk_mul_f32 v[50:51], v[0:1], v[42:43]
	v_pk_mul_f32 v[90:91], v[0:1], v[40:41]
	v_pk_fma_f32 v[80:81], v[88:89], v[42:43], v[50:51] op_sel:[0,0,1] op_sel_hi:[1,1,0]
	v_pk_fma_f32 v[42:43], v[88:89], v[42:43], v[50:51] op_sel:[0,0,1] op_sel_hi:[1,1,0] neg_lo:[0,0,1] neg_hi:[0,0,1]
	v_pk_fma_f32 v[92:93], v[88:89], v[40:41], v[90:91] op_sel:[0,0,1] op_sel_hi:[1,1,0]
	v_mov_b32_e32 v81, v43
	s_waitcnt lgkmcnt(1)
	v_pk_mul_f32 v[42:43], v[2:3], v[48:49]
	v_pk_fma_f32 v[40:41], v[88:89], v[40:41], v[90:91] op_sel:[0,0,1] op_sel_hi:[1,1,0] neg_lo:[0,0,1] neg_hi:[0,0,1]
	v_pk_fma_f32 v[84:85], v[86:87], v[48:49], v[42:43] op_sel:[0,0,1] op_sel_hi:[1,1,0]
	v_pk_fma_f32 v[42:43], v[86:87], v[48:49], v[42:43] op_sel:[0,0,1] op_sel_hi:[1,1,0] neg_lo:[0,0,1] neg_hi:[0,0,1]
	ds_read2_b64 v[48:51], v67 offset1:88
	v_mov_b32_e32 v93, v41
	s_waitcnt lgkmcnt(1)
	v_pk_mul_f32 v[40:41], v[2:3], v[54:55]
	v_pk_mul_f32 v[0:1], v[0:1], v[46:47]
	v_pk_fma_f32 v[90:91], v[86:87], v[54:55], v[40:41] op_sel:[0,0,1] op_sel_hi:[1,1,0]
	v_pk_fma_f32 v[40:41], v[86:87], v[54:55], v[40:41] op_sel:[0,0,1] op_sel_hi:[1,1,0] neg_lo:[0,0,1] neg_hi:[0,0,1]
	v_pk_fma_f32 v[54:55], v[88:89], v[46:47], v[0:1] op_sel:[0,0,1] op_sel_hi:[1,1,0]
	v_pk_fma_f32 v[0:1], v[88:89], v[46:47], v[0:1] op_sel:[0,0,1] op_sel_hi:[1,1,0] neg_lo:[0,0,1] neg_hi:[0,0,1]
	s_mov_b32 s0, 0x3f5db3d7
	v_mov_b32_e32 v55, v1
	v_pk_mul_f32 v[0:1], v[2:3], v[52:53]
	v_mov_b32_e32 v91, v41
	v_pk_fma_f32 v[2:3], v[86:87], v[52:53], v[0:1] op_sel:[0,0,1] op_sel_hi:[1,1,0]
	v_pk_fma_f32 v[0:1], v[86:87], v[52:53], v[0:1] op_sel:[0,0,1] op_sel_hi:[1,1,0] neg_lo:[0,0,1] neg_hi:[0,0,1]
	s_waitcnt lgkmcnt(0)
	v_mov_b32_e32 v3, v1
	v_pk_add_f32 v[0:1], v[48:49], v[54:55]
	v_pk_add_f32 v[46:47], v[54:55], v[2:3]
	;; [unrolled: 1-line block ×3, first 2 shown]
	v_pk_add_f32 v[2:3], v[54:55], v[2:3] neg_lo:[0,1] neg_hi:[0,1]
	v_pk_fma_f32 v[46:47], v[46:47], 0.5, v[48:49] op_sel_hi:[1,0,1] neg_lo:[1,0,0] neg_hi:[1,0,0]
	v_pk_mul_f32 v[2:3], v[2:3], s[0:1] op_sel_hi:[1,0]
	s_barrier
	v_pk_add_f32 v[48:49], v[46:47], v[2:3] op_sel:[0,1] op_sel_hi:[1,0] neg_lo:[0,1] neg_hi:[0,1]
	v_pk_add_f32 v[2:3], v[46:47], v[2:3] op_sel:[0,1] op_sel_hi:[1,0]
	v_mov_b32_e32 v46, v48
	v_mov_b32_e32 v47, v3
	;; [unrolled: 1-line block ×3, first 2 shown]
	ds_write2_b64 v188, v[0:1], v[46:47] offset1:8
	ds_write_b64 v188, v[2:3] offset:128
	v_pk_add_f32 v[0:1], v[92:93], v[90:91]
	v_pk_add_f32 v[2:3], v[92:93], v[90:91] neg_lo:[0,1] neg_hi:[0,1]
	v_pk_fma_f32 v[0:1], v[0:1], 0.5, v[50:51] op_sel_hi:[1,0,1] neg_lo:[1,0,0] neg_hi:[1,0,0]
	v_pk_mul_f32 v[2:3], v[2:3], s[0:1] op_sel_hi:[1,0]
	v_pk_add_f32 v[40:41], v[50:51], v[92:93]
	v_pk_add_f32 v[46:47], v[0:1], v[2:3] op_sel:[0,1] op_sel_hi:[1,0] neg_lo:[0,1] neg_hi:[0,1]
	v_pk_add_f32 v[0:1], v[0:1], v[2:3] op_sel:[0,1] op_sel_hi:[1,0]
	v_mov_b32_e32 v85, v43
	v_pk_add_f32 v[40:41], v[40:41], v[90:91]
	v_mov_b32_e32 v2, v46
	v_mov_b32_e32 v3, v1
	v_mov_b32_e32 v1, v47
	ds_write2_b64 v187, v[40:41], v[2:3] offset1:8
	ds_write_b64 v187, v[0:1] offset:128
	v_pk_add_f32 v[0:1], v[80:81], v[84:85]
	v_pk_add_f32 v[2:3], v[80:81], v[84:85] neg_lo:[0,1] neg_hi:[0,1]
	v_pk_fma_f32 v[0:1], v[0:1], 0.5, v[44:45] op_sel_hi:[1,0,1] neg_lo:[1,0,0] neg_hi:[1,0,0]
	v_pk_mul_f32 v[2:3], v[2:3], s[0:1] op_sel_hi:[1,0]
	v_pk_add_f32 v[42:43], v[44:45], v[80:81]
	v_pk_add_f32 v[40:41], v[0:1], v[2:3] op_sel:[0,1] op_sel_hi:[1,0] neg_lo:[0,1] neg_hi:[0,1]
	v_pk_add_f32 v[0:1], v[0:1], v[2:3] op_sel:[0,1] op_sel_hi:[1,0]
	v_pk_add_f32 v[42:43], v[42:43], v[84:85]
	v_mov_b32_e32 v2, v40
	v_mov_b32_e32 v3, v1
	;; [unrolled: 1-line block ×3, first 2 shown]
	ds_write2_b64 v186, v[42:43], v[2:3] offset1:8
	ds_write_b64 v186, v[0:1] offset:128
	s_waitcnt lgkmcnt(0)
	s_barrier
	ds_read2_b64 v[0:3], v94 offset0:48 offset1:136
	ds_read2_b64 v[42:45], v95 offset0:16 offset1:104
	;; [unrolled: 1-line block ×3, first 2 shown]
	ds_read2_b64 v[50:53], v67 offset1:88
	s_waitcnt lgkmcnt(3)
	v_pk_mul_f32 v[54:55], v[12:13], v[2:3] op_sel_hi:[1,0]
	v_mov_b32_e32 v40, v3
	v_pk_fma_f32 v[2:3], v[12:13], v[2:3], v[54:55] op_sel:[0,1,1] op_sel_hi:[1,1,0]
	v_pk_fma_f32 v[40:41], v[12:13], v[40:41], v[54:55] op_sel:[0,0,1] op_sel_hi:[1,1,0] neg_lo:[0,0,1] neg_hi:[0,0,1]
	s_waitcnt lgkmcnt(2)
	v_mov_b32_e32 v2, v43
	v_pk_mul_f32 v[12:13], v[14:15], v[42:43] op_sel_hi:[1,0]
	v_mov_b32_e32 v80, v3
	v_pk_fma_f32 v[54:55], v[14:15], v[2:3], v[12:13] op_sel:[0,0,1] op_sel_hi:[1,1,0] neg_lo:[0,0,1] neg_hi:[0,0,1]
	v_pk_fma_f32 v[12:13], v[14:15], v[42:43], v[12:13] op_sel:[0,1,1] op_sel_hi:[1,1,0]
	v_mov_b32_e32 v81, v40
	v_mov_b32_e32 v55, v13
	v_mov_b32_e32 v12, v13
	v_mov_b32_e32 v13, v54
	v_mov_b32_e32 v41, v3
	v_pk_add_f32 v[2:3], v[80:81], v[12:13]
	v_pk_add_f32 v[14:15], v[40:41], v[54:55] neg_lo:[0,1] neg_hi:[0,1]
	s_waitcnt lgkmcnt(0)
	v_pk_fma_f32 v[2:3], v[2:3], 0.5, v[50:51] op_sel_hi:[1,0,1] neg_lo:[1,0,0] neg_hi:[1,0,0]
	v_pk_mul_f32 v[40:41], v[8:9], v[46:47] op_sel_hi:[1,0]
	v_pk_fma_f32 v[42:43], v[14:15], s[0:1], v[2:3] op_sel_hi:[1,0,1]
	v_pk_fma_f32 v[2:3], v[14:15], s[0:1], v[2:3] op_sel_hi:[1,0,1] neg_lo:[1,0,0] neg_hi:[1,0,0]
	v_mov_b32_e32 v14, v47
	v_pk_fma_f32 v[14:15], v[8:9], v[14:15], v[40:41] op_sel:[0,0,1] op_sel_hi:[1,1,0] neg_lo:[0,0,1] neg_hi:[0,0,1]
	v_pk_fma_f32 v[8:9], v[8:9], v[46:47], v[40:41] op_sel:[0,1,1] op_sel_hi:[1,1,0]
	v_pk_mul_f32 v[40:41], v[10:11], v[44:45] op_sel_hi:[1,0]
	v_mov_b32_e32 v8, v45
	v_pk_fma_f32 v[46:47], v[10:11], v[8:9], v[40:41] op_sel:[0,0,1] op_sel_hi:[1,1,0] neg_lo:[0,0,1] neg_hi:[0,0,1]
	v_pk_fma_f32 v[10:11], v[10:11], v[44:45], v[40:41] op_sel:[0,1,1] op_sel_hi:[1,1,0]
	v_mov_b32_e32 v15, v9
	v_mov_b32_e32 v47, v11
	;; [unrolled: 1-line block ×6, first 2 shown]
	v_pk_add_f32 v[40:41], v[8:9], v[10:11]
	v_pk_add_f32 v[8:9], v[52:53], v[8:9]
	v_pk_add_f32 v[46:47], v[14:15], v[46:47] neg_lo:[0,1] neg_hi:[0,1]
	v_pk_add_f32 v[14:15], v[8:9], v[10:11]
	ds_read_b64 v[10:11], v67 offset:5632
	v_pk_fma_f32 v[44:45], v[40:41], 0.5, v[52:53] op_sel_hi:[1,0,1] neg_lo:[1,0,0] neg_hi:[1,0,0]
	s_waitcnt lgkmcnt(0)
	v_pk_fma_f32 v[40:41], v[46:47], s[0:1], v[44:45] op_sel_hi:[1,0,1]
	v_pk_fma_f32 v[8:9], v[46:47], s[0:1], v[44:45] op_sel_hi:[1,0,1] neg_lo:[1,0,0] neg_hi:[1,0,0]
	v_pk_mul_f32 v[44:45], v[78:79], v[48:49]
	v_pk_mul_f32 v[36:37], v[36:37], v[10:11]
	v_pk_fma_f32 v[46:47], v[4:5], v[48:49], v[44:45] op_sel:[0,0,1] op_sel_hi:[1,1,0]
	v_pk_fma_f32 v[4:5], v[4:5], v[48:49], v[44:45] op_sel:[0,0,1] op_sel_hi:[1,1,0] neg_lo:[1,0,0] neg_hi:[1,0,0]
	v_pk_fma_f32 v[44:45], v[6:7], v[10:11], v[36:37] op_sel:[0,0,1] op_sel_hi:[1,1,0]
	v_pk_fma_f32 v[6:7], v[6:7], v[10:11], v[36:37] op_sel:[0,0,1] op_sel_hi:[1,1,0] neg_lo:[1,0,0] neg_hi:[1,0,0]
	v_mov_b32_e32 v10, v47
	v_mov_b32_e32 v11, v4
	;; [unrolled: 1-line block ×5, first 2 shown]
	v_pk_add_f32 v[44:45], v[10:11], v[36:37]
	v_mov_b32_e32 v5, v47
	v_pk_fma_f32 v[46:47], v[44:45], 0.5, v[0:1] op_sel_hi:[1,0,1] neg_lo:[1,0,0] neg_hi:[1,0,0]
	v_pk_add_f32 v[0:1], v[0:1], v[10:11]
	v_pk_add_f32 v[6:7], v[4:5], v[6:7] neg_lo:[0,1] neg_hi:[0,1]
	v_pk_add_f32 v[4:5], v[0:1], v[36:37]
	v_pk_add_f32 v[0:1], v[50:51], v[80:81]
	v_mov_b32_e32 v10, v2
	v_pk_add_f32 v[0:1], v[0:1], v[12:13]
	v_mov_b32_e32 v11, v43
	s_barrier
	ds_write2_b64 v189, v[0:1], v[10:11] offset1:24
	v_mov_b32_e32 v10, v42
	v_mov_b32_e32 v11, v3
	ds_write_b64 v189, v[10:11] offset:384
	v_mov_b32_e32 v10, v8
	v_mov_b32_e32 v11, v41
	v_pk_fma_f32 v[44:45], v[6:7], s[0:1], v[46:47] op_sel_hi:[1,0,1]
	v_pk_fma_f32 v[6:7], v[6:7], s[0:1], v[46:47] op_sel_hi:[1,0,1] neg_lo:[1,0,0] neg_hi:[1,0,0]
	ds_write2_b64 v190, v[14:15], v[10:11] offset1:24
	v_mov_b32_e32 v10, v40
	v_mov_b32_e32 v11, v9
	ds_write_b64 v190, v[10:11] offset:384
	v_mov_b32_e32 v10, v6
	v_mov_b32_e32 v11, v45
	ds_write2_b64 v191, v[4:5], v[10:11] offset1:24
	v_mov_b32_e32 v10, v44
	v_mov_b32_e32 v11, v7
	ds_write_b64 v191, v[10:11] offset:384
	s_waitcnt lgkmcnt(0)
	s_barrier
	s_and_saveexec_b64 s[0:1], s[4:5]
	s_xor_b64 s[0:1], exec, s[0:1]
	s_andn2_saveexec_b64 s[0:1], s[0:1]
	s_cbranch_execz .LBB0_35
; %bb.34:
	ds_read2_b64 v[0:3], v67 offset1:72
	v_add_u32_e32 v8, 0x800, v67
	v_add_u32_e32 v4, 0x1000, v67
	ds_read2_b64 v[36:39], v4 offset0:64 offset1:136
	ds_read2_b64 v[4:7], v8 offset0:176 offset1:248
	ds_read2_b64 v[8:11], v8 offset0:32 offset1:104
	ds_read2_b64 v[12:15], v67 offset0:144 offset1:216
	ds_read_b64 v[82:83], v67 offset:5760
	s_waitcnt lgkmcnt(4)
	v_mov_b32_e32 v44, v36
	s_waitcnt lgkmcnt(3)
	v_mov_b32_e32 v45, v7
	;; [unrolled: 2-line block ×3, first 2 shown]
	v_mov_b32_e32 v41, v9
	s_waitcnt lgkmcnt(1)
	v_mov_b32_e32 v42, v12
	v_mov_b32_e32 v43, v3
	;; [unrolled: 1-line block ×5, first 2 shown]
.LBB0_35:
	s_or_b64 exec, exec, s[0:1]
	s_and_saveexec_b64 s[0:1], s[2:3]
	s_cbranch_execz .LBB0_37
; %bb.36:
	s_waitcnt lgkmcnt(0)
	v_pk_mul_f32 v[12:13], v[34:35], v[82:83] op_sel:[0,1]
	v_pk_mul_f32 v[46:47], v[32:33], v[38:39] op_sel:[0,1]
	v_pk_fma_f32 v[84:85], v[34:35], v[82:83], v[12:13] op_sel:[0,0,1] op_sel_hi:[1,1,0]
	v_pk_fma_f32 v[12:13], v[34:35], v[82:83], v[12:13] op_sel:[0,0,1] op_sel_hi:[1,0,0] neg_lo:[1,0,0] neg_hi:[1,0,0]
	v_pk_mul_f32 v[36:37], v[18:19], v[2:3] op_sel:[0,1]
	v_mov_b32_e32 v85, v13
	v_pk_fma_f32 v[12:13], v[32:33], v[38:39], v[46:47] op_sel:[0,0,1] op_sel_hi:[1,1,0]
	v_pk_fma_f32 v[32:33], v[32:33], v[38:39], v[46:47] op_sel:[0,0,1] op_sel_hi:[1,0,0] neg_lo:[1,0,0] neg_hi:[1,0,0]
	v_pk_mul_f32 v[50:51], v[30:31], v[6:7] op_sel:[0,1]
	v_mov_b32_e32 v13, v33
	;; [unrolled: 4-line block ×5, first 2 shown]
	v_pk_fma_f32 v[14:15], v[28:29], v[6:7], v[54:55] op_sel:[0,0,1] op_sel_hi:[1,1,0]
	v_pk_fma_f32 v[6:7], v[28:29], v[6:7], v[54:55] op_sel:[0,0,1] op_sel_hi:[1,0,0] neg_lo:[1,0,0] neg_hi:[1,0,0]
	v_pk_mul_f32 v[78:79], v[20:21], v[8:9] op_sel:[0,1]
	v_pk_mul_f32 v[80:81], v[22:23], v[4:5] op_sel:[0,1]
	v_mov_b32_e32 v15, v7
	v_pk_fma_f32 v[6:7], v[26:27], v[8:9], v[52:53] op_sel:[0,0,1] op_sel_hi:[1,1,0]
	v_pk_fma_f32 v[8:9], v[26:27], v[8:9], v[52:53] op_sel:[0,0,1] op_sel_hi:[1,0,0] neg_lo:[1,0,0] neg_hi:[1,0,0]
	v_pk_mul_f32 v[10:11], v[16:17], v[42:43] op_sel:[0,1]
	v_mov_b32_e32 v7, v9
	v_pk_fma_f32 v[8:9], v[22:23], v[4:5], v[80:81] op_sel:[0,0,1] op_sel_hi:[1,1,0]
	v_pk_fma_f32 v[4:5], v[22:23], v[4:5], v[80:81] op_sel:[0,0,1] op_sel_hi:[1,0,0] neg_lo:[1,0,0] neg_hi:[1,0,0]
	v_pk_add_f32 v[28:29], v[6:7], v[14:15] neg_lo:[0,1] neg_hi:[0,1]
	v_mov_b32_e32 v9, v5
	v_pk_fma_f32 v[4:5], v[20:21], v[40:41], v[78:79] op_sel:[0,0,1] op_sel_hi:[1,1,0]
	v_pk_fma_f32 v[20:21], v[20:21], v[40:41], v[78:79] op_sel:[0,0,1] op_sel_hi:[1,0,0] neg_lo:[1,0,0] neg_hi:[1,0,0]
	v_pk_add_f32 v[34:35], v[14:15], v[6:7]
	v_mov_b32_e32 v5, v21
	v_pk_fma_f32 v[20:21], v[16:17], v[2:3], v[10:11] op_sel:[0,0,1] op_sel_hi:[1,1,0]
	v_pk_fma_f32 v[2:3], v[16:17], v[2:3], v[10:11] op_sel:[0,0,1] op_sel_hi:[1,0,0] neg_lo:[1,0,0] neg_hi:[1,0,0]
	v_pk_add_f32 v[36:37], v[4:5], v[8:9] neg_lo:[0,1] neg_hi:[0,1]
	v_mov_b32_e32 v21, v3
	v_pk_add_f32 v[2:3], v[20:21], v[84:85] neg_lo:[0,1] neg_hi:[0,1]
	v_pk_add_f32 v[10:11], v[84:85], v[20:21]
	v_pk_add_f32 v[20:21], v[0:1], v[20:21]
	;; [unrolled: 1-line block ×4, first 2 shown]
	s_mov_b32 s20, 0xbf0a6770
	v_pk_add_f32 v[20:21], v[30:31], v[20:21]
	v_pk_add_f32 v[16:17], v[32:33], v[12:13] neg_lo:[0,1] neg_hi:[0,1]
	v_pk_add_f32 v[6:7], v[6:7], v[20:21]
	s_mov_b32 s2, 0x3f575c64
	v_pk_add_f32 v[4:5], v[4:5], v[6:7]
	v_pk_mul_f32 v[40:41], v[2:3], s[20:21] op_sel_hi:[1,0]
	v_pk_add_f32 v[4:5], v[8:9], v[4:5]
	s_mov_b32 s28, 0xbf68dda4
	v_pk_add_f32 v[4:5], v[14:15], v[4:5]
	v_pk_add_f32 v[22:23], v[12:13], v[32:33]
	;; [unrolled: 1-line block ×3, first 2 shown]
	v_pk_fma_f32 v[42:43], v[10:11], s[2:3], v[40:41] op_sel:[0,0,1] op_sel_hi:[1,0,0]
	v_pk_add_f32 v[4:5], v[12:13], v[4:5]
	v_pk_fma_f32 v[40:41], v[10:11], s[2:3], v[40:41] op_sel:[0,0,1] op_sel_hi:[1,0,0] neg_lo:[0,0,1] neg_hi:[0,0,1]
	s_mov_b32 s4, 0x3ed4b147
	v_pk_mul_f32 v[46:47], v[16:17], s[28:29] op_sel_hi:[1,0]
	v_pk_add_f32 v[4:5], v[84:85], v[4:5]
	v_mov_b32_e32 v44, v42
	v_mov_b32_e32 v45, v41
	v_pk_fma_f32 v[48:49], v[22:23], s[4:5], v[46:47] op_sel:[0,0,1] op_sel_hi:[1,0,0]
	v_pk_fma_f32 v[46:47], v[22:23], s[4:5], v[46:47] op_sel:[0,0,1] op_sel_hi:[1,0,0] neg_lo:[0,0,1] neg_hi:[0,0,1]
	s_mov_b32 s22, 0xbf4178ce
	ds_write_b64 v67, v[4:5]
	v_pk_mul_f32 v[4:5], v[2:3], s[28:29] op_sel_hi:[1,0]
	v_pk_add_f32 v[24:25], v[30:31], v[18:19] neg_lo:[0,1] neg_hi:[0,1]
	v_pk_add_f32 v[44:45], v[0:1], v[44:45]
	v_mov_b32_e32 v50, v48
	v_mov_b32_e32 v51, v47
	s_mov_b32 s18, 0xbf7d64f0
	s_mov_b32 s16, 0xbf27a4f4
	v_pk_fma_f32 v[6:7], v[10:11], s[4:5], v[4:5] op_sel:[0,0,1] op_sel_hi:[1,0,0]
	v_pk_fma_f32 v[4:5], v[10:11], s[4:5], v[4:5] op_sel:[0,0,1] op_sel_hi:[1,0,0] neg_lo:[0,0,1] neg_hi:[0,0,1]
	v_pk_mul_f32 v[12:13], v[16:17], s[22:23] op_sel_hi:[1,0]
	v_pk_add_f32 v[26:27], v[18:19], v[30:31]
	v_pk_add_f32 v[44:45], v[50:51], v[44:45]
	s_mov_b32 s14, 0xbe11bafb
	v_pk_mul_f32 v[50:51], v[24:25], s[18:19] op_sel_hi:[1,0]
	v_mov_b32_e32 v8, v6
	v_mov_b32_e32 v9, v5
	v_pk_fma_f32 v[14:15], v[22:23], s[16:17], v[12:13] op_sel:[0,0,1] op_sel_hi:[1,0,0]
	v_pk_fma_f32 v[12:13], v[22:23], s[16:17], v[12:13] op_sel:[0,0,1] op_sel_hi:[1,0,0] neg_lo:[0,0,1] neg_hi:[0,0,1]
	v_pk_fma_f32 v[52:53], v[26:27], s[14:15], v[50:51] op_sel:[0,0,1] op_sel_hi:[1,0,0]
	v_pk_fma_f32 v[50:51], v[26:27], s[14:15], v[50:51] op_sel:[0,0,1] op_sel_hi:[1,0,0] neg_lo:[0,0,1] neg_hi:[0,0,1]
	v_pk_add_f32 v[8:9], v[0:1], v[8:9]
	v_mov_b32_e32 v18, v14
	v_mov_b32_e32 v19, v13
	s_mov_b32 s28, 0x3e903f40
	v_mov_b32_e32 v54, v52
	v_mov_b32_e32 v55, v51
	s_mov_b32 s24, 0xbf75a155
	v_pk_add_f32 v[8:9], v[18:19], v[8:9]
	v_pk_mul_f32 v[18:19], v[24:25], s[28:29] op_sel_hi:[1,0]
	v_pk_add_f32 v[44:45], v[54:55], v[44:45]
	v_pk_mul_f32 v[54:55], v[28:29], s[22:23] op_sel_hi:[1,0]
	v_pk_fma_f32 v[20:21], v[26:27], s[24:25], v[18:19] op_sel:[0,0,1] op_sel_hi:[1,0,0]
	v_pk_fma_f32 v[18:19], v[26:27], s[24:25], v[18:19] op_sel:[0,0,1] op_sel_hi:[1,0,0] neg_lo:[0,0,1] neg_hi:[0,0,1]
	v_pk_fma_f32 v[78:79], v[34:35], s[16:17], v[54:55] op_sel:[0,0,1] op_sel_hi:[1,0,0]
	v_pk_fma_f32 v[54:55], v[34:35], s[16:17], v[54:55] op_sel:[0,0,1] op_sel_hi:[1,0,0] neg_lo:[0,0,1] neg_hi:[0,0,1]
	v_mov_b32_e32 v30, v20
	v_mov_b32_e32 v31, v19
	s_mov_b32 s30, 0x3f7d64f0
	v_mov_b32_e32 v80, v78
	v_mov_b32_e32 v81, v55
	s_mov_b32 s26, 0xbe903f40
	v_pk_add_f32 v[8:9], v[30:31], v[8:9]
	v_pk_mul_f32 v[30:31], v[28:29], s[30:31] op_sel_hi:[1,0]
	v_pk_add_f32 v[44:45], v[80:81], v[44:45]
	v_pk_mul_f32 v[80:81], v[36:37], s[26:27] op_sel_hi:[1,0]
	v_pk_fma_f32 v[32:33], v[34:35], s[14:15], v[30:31] op_sel:[0,0,1] op_sel_hi:[1,0,0]
	v_pk_fma_f32 v[30:31], v[34:35], s[14:15], v[30:31] op_sel:[0,0,1] op_sel_hi:[1,0,0] neg_lo:[0,0,1] neg_hi:[0,0,1]
	v_pk_fma_f32 v[82:83], v[38:39], s[24:25], v[80:81] op_sel:[0,0,1] op_sel_hi:[1,0,0]
	v_pk_fma_f32 v[80:81], v[38:39], s[24:25], v[80:81] op_sel:[0,0,1] op_sel_hi:[1,0,0] neg_lo:[0,0,1] neg_hi:[0,0,1]
	v_mov_b32_e32 v84, v32
	v_mov_b32_e32 v85, v31
	s_mov_b32 s34, 0x3f0a6770
	v_mov_b32_e32 v86, v82
	v_mov_b32_e32 v87, v81
	v_pk_add_f32 v[8:9], v[84:85], v[8:9]
	v_pk_mul_f32 v[84:85], v[36:37], s[34:35] op_sel_hi:[1,0]
	v_pk_add_f32 v[44:45], v[86:87], v[44:45]
	v_pk_fma_f32 v[86:87], v[38:39], s[2:3], v[84:85] op_sel:[0,0,1] op_sel_hi:[1,0,0]
	v_pk_fma_f32 v[84:85], v[38:39], s[2:3], v[84:85] op_sel:[0,0,1] op_sel_hi:[1,0,0] neg_lo:[0,0,1] neg_hi:[0,0,1]
	v_mov_b32_e32 v88, v86
	v_mov_b32_e32 v89, v85
	v_lshl_add_u32 v59, v58, 3, v170
	v_pk_add_f32 v[8:9], v[88:89], v[8:9]
	ds_write2_b64 v59, v[44:45], v[8:9] offset0:72 offset1:144
	v_pk_mul_f32 v[8:9], v[2:3], s[18:19] op_sel_hi:[1,0]
	v_pk_mul_f32 v[44:45], v[16:17], s[28:29] op_sel_hi:[1,0]
	v_pk_fma_f32 v[94:95], v[10:11], s[14:15], v[8:9] op_sel:[0,0,1] op_sel_hi:[1,0,0]
	v_pk_fma_f32 v[8:9], v[10:11], s[14:15], v[8:9] op_sel:[0,0,1] op_sel_hi:[1,0,0] neg_lo:[0,0,1] neg_hi:[0,0,1]
	s_mov_b32 s28, 0x3f68dda4
	v_mov_b32_e32 v96, v94
	v_mov_b32_e32 v97, v9
	v_pk_fma_f32 v[98:99], v[22:23], s[24:25], v[44:45] op_sel:[0,0,1] op_sel_hi:[1,0,0]
	v_pk_fma_f32 v[44:45], v[22:23], s[24:25], v[44:45] op_sel:[0,0,1] op_sel_hi:[1,0,0] neg_lo:[0,0,1] neg_hi:[0,0,1]
	v_pk_mul_f32 v[88:89], v[24:25], s[28:29] op_sel_hi:[1,0]
	v_pk_add_f32 v[96:97], v[0:1], v[96:97]
	v_mov_b32_e32 v100, v98
	v_mov_b32_e32 v101, v45
	v_pk_add_f32 v[96:97], v[100:101], v[96:97]
	v_pk_fma_f32 v[100:101], v[26:27], s[4:5], v[88:89] op_sel:[0,0,1] op_sel_hi:[1,0,0]
	v_pk_fma_f32 v[88:89], v[26:27], s[4:5], v[88:89] op_sel:[0,0,1] op_sel_hi:[1,0,0] neg_lo:[0,0,1] neg_hi:[0,0,1]
	v_pk_mul_f32 v[90:91], v[28:29], s[20:21] op_sel_hi:[1,0]
	v_mov_b32_e32 v102, v100
	v_mov_b32_e32 v103, v89
	v_pk_add_f32 v[96:97], v[102:103], v[96:97]
	v_pk_fma_f32 v[102:103], v[34:35], s[2:3], v[90:91] op_sel:[0,0,1] op_sel_hi:[1,0,0]
	v_pk_fma_f32 v[90:91], v[34:35], s[2:3], v[90:91] op_sel:[0,0,1] op_sel_hi:[1,0,0] neg_lo:[0,0,1] neg_hi:[0,0,1]
	v_pk_mul_f32 v[92:93], v[36:37], s[22:23] op_sel_hi:[1,0]
	v_mov_b32_e32 v104, v102
	v_mov_b32_e32 v105, v91
	v_pk_add_f32 v[96:97], v[104:105], v[96:97]
	v_pk_fma_f32 v[104:105], v[38:39], s[16:17], v[92:93] op_sel:[0,0,1] op_sel_hi:[1,0,0]
	v_pk_fma_f32 v[92:93], v[38:39], s[16:17], v[92:93] op_sel:[0,0,1] op_sel_hi:[1,0,0] neg_lo:[0,0,1] neg_hi:[0,0,1]
	v_mov_b32_e32 v106, v104
	v_mov_b32_e32 v107, v93
	v_pk_add_f32 v[96:97], v[106:107], v[96:97]
	v_pk_mul_f32 v[106:107], v[2:3], s[22:23] op_sel_hi:[1,0]
	v_pk_mul_f32 v[112:113], v[16:17], s[30:31] op_sel_hi:[1,0]
	v_pk_fma_f32 v[108:109], v[10:11], s[16:17], v[106:107] op_sel:[0,0,1] op_sel_hi:[1,0,0]
	v_pk_fma_f32 v[106:107], v[10:11], s[16:17], v[106:107] op_sel:[0,0,1] op_sel_hi:[1,0,0] neg_lo:[0,0,1] neg_hi:[0,0,1]
	v_mov_b32_e32 v110, v108
	v_mov_b32_e32 v111, v107
	v_pk_fma_f32 v[114:115], v[22:23], s[14:15], v[112:113] op_sel:[0,0,1] op_sel_hi:[1,0,0]
	v_pk_fma_f32 v[112:113], v[22:23], s[14:15], v[112:113] op_sel:[0,0,1] op_sel_hi:[1,0,0] neg_lo:[0,0,1] neg_hi:[0,0,1]
	v_pk_add_f32 v[110:111], v[0:1], v[110:111]
	v_mov_b32_e32 v116, v114
	v_mov_b32_e32 v117, v113
	v_pk_add_f32 v[110:111], v[116:117], v[110:111]
	v_pk_mul_f32 v[116:117], v[24:25], s[20:21] op_sel_hi:[1,0]
	v_add_u32_e32 v5, 0x400, v59
	v_pk_fma_f32 v[118:119], v[26:27], s[2:3], v[116:117] op_sel:[0,0,1] op_sel_hi:[1,0,0]
	v_pk_fma_f32 v[116:117], v[26:27], s[2:3], v[116:117] op_sel:[0,0,1] op_sel_hi:[1,0,0] neg_lo:[0,0,1] neg_hi:[0,0,1]
	v_mov_b32_e32 v120, v118
	v_mov_b32_e32 v121, v117
	v_pk_add_f32 v[110:111], v[120:121], v[110:111]
	v_pk_mul_f32 v[120:121], v[28:29], s[26:27] op_sel_hi:[1,0]
	v_pk_mul_f32 v[2:3], v[2:3], s[26:27] op_sel_hi:[1,0]
	v_pk_fma_f32 v[122:123], v[34:35], s[24:25], v[120:121] op_sel:[0,0,1] op_sel_hi:[1,0,0]
	v_pk_fma_f32 v[120:121], v[34:35], s[24:25], v[120:121] op_sel:[0,0,1] op_sel_hi:[1,0,0] neg_lo:[0,0,1] neg_hi:[0,0,1]
	v_mov_b32_e32 v124, v122
	v_mov_b32_e32 v125, v121
	v_pk_add_f32 v[110:111], v[124:125], v[110:111]
	v_pk_mul_f32 v[124:125], v[36:37], s[28:29] op_sel_hi:[1,0]
	v_pk_mul_f32 v[16:17], v[16:17], s[34:35] op_sel_hi:[1,0]
	v_pk_fma_f32 v[126:127], v[38:39], s[4:5], v[124:125] op_sel:[0,0,1] op_sel_hi:[1,0,0]
	v_pk_fma_f32 v[124:125], v[38:39], s[4:5], v[124:125] op_sel:[0,0,1] op_sel_hi:[1,0,0] neg_lo:[0,0,1] neg_hi:[0,0,1]
	v_mov_b32_e32 v128, v126
	v_mov_b32_e32 v129, v125
	v_pk_add_f32 v[110:111], v[128:129], v[110:111]
	ds_write2_b64 v5, v[96:97], v[110:111] offset0:88 offset1:160
	v_pk_fma_f32 v[96:97], v[10:11], s[24:25], v[2:3] op_sel:[0,0,1] op_sel_hi:[1,0,0]
	v_pk_fma_f32 v[2:3], v[10:11], s[24:25], v[2:3] op_sel:[0,0,1] op_sel_hi:[1,0,0] neg_lo:[0,0,1] neg_hi:[0,0,1]
	v_mov_b32_e32 v10, v96
	v_mov_b32_e32 v11, v3
	v_pk_fma_f32 v[110:111], v[22:23], s[2:3], v[16:17] op_sel:[0,0,1] op_sel_hi:[1,0,0]
	v_pk_fma_f32 v[16:17], v[22:23], s[2:3], v[16:17] op_sel:[0,0,1] op_sel_hi:[1,0,0] neg_lo:[0,0,1] neg_hi:[0,0,1]
	v_pk_mul_f32 v[24:25], v[24:25], s[22:23] op_sel_hi:[1,0]
	v_pk_add_f32 v[10:11], v[0:1], v[10:11]
	v_mov_b32_e32 v22, v110
	v_mov_b32_e32 v23, v17
	v_pk_add_f32 v[10:11], v[22:23], v[10:11]
	v_pk_fma_f32 v[22:23], v[26:27], s[16:17], v[24:25] op_sel:[0,0,1] op_sel_hi:[1,0,0]
	v_pk_fma_f32 v[24:25], v[26:27], s[16:17], v[24:25] op_sel:[0,0,1] op_sel_hi:[1,0,0] neg_lo:[0,0,1] neg_hi:[0,0,1]
	v_pk_mul_f32 v[28:29], v[28:29], s[28:29] op_sel_hi:[1,0]
	v_mov_b32_e32 v26, v22
	v_mov_b32_e32 v27, v25
	;; [unrolled: 1-line block ×3, first 2 shown]
	v_pk_add_f32 v[10:11], v[26:27], v[10:11]
	v_pk_fma_f32 v[26:27], v[34:35], s[4:5], v[28:29] op_sel:[0,0,1] op_sel_hi:[1,0,0]
	v_pk_fma_f32 v[28:29], v[34:35], s[4:5], v[28:29] op_sel:[0,0,1] op_sel_hi:[1,0,0] neg_lo:[0,0,1] neg_hi:[0,0,1]
	v_pk_add_f32 v[2:3], v[0:1], v[2:3]
	v_mov_b32_e32 v17, v111
	v_pk_mul_f32 v[36:37], v[36:37], s[18:19] op_sel_hi:[1,0]
	v_mov_b32_e32 v34, v26
	v_mov_b32_e32 v35, v29
	v_pk_add_f32 v[2:3], v[16:17], v[2:3]
	v_mov_b32_e32 v25, v23
	v_pk_add_f32 v[10:11], v[34:35], v[10:11]
	v_pk_fma_f32 v[34:35], v[38:39], s[14:15], v[36:37] op_sel:[0,0,1] op_sel_hi:[1,0,0]
	v_pk_fma_f32 v[36:37], v[38:39], s[14:15], v[36:37] op_sel:[0,0,1] op_sel_hi:[1,0,0] neg_lo:[0,0,1] neg_hi:[0,0,1]
	v_pk_add_f32 v[2:3], v[24:25], v[2:3]
	v_mov_b32_e32 v29, v27
	v_mov_b32_e32 v38, v34
	;; [unrolled: 1-line block ×3, first 2 shown]
	v_pk_add_f32 v[2:3], v[28:29], v[2:3]
	v_mov_b32_e32 v37, v35
	v_pk_add_f32 v[10:11], v[38:39], v[10:11]
	v_pk_add_f32 v[2:3], v[36:37], v[2:3]
	v_add_u32_e32 v5, 0x800, v59
	v_mov_b32_e32 v107, v109
	v_mov_b32_e32 v9, v95
	ds_write2_b64 v5, v[10:11], v[2:3] offset0:104 offset1:176
	v_pk_add_f32 v[2:3], v[0:1], v[106:107]
	v_mov_b32_e32 v113, v115
	v_pk_add_f32 v[8:9], v[0:1], v[8:9]
	v_mov_b32_e32 v45, v99
	;; [unrolled: 2-line block ×8, first 2 shown]
	v_pk_add_f32 v[2:3], v[124:125], v[2:3]
	v_pk_add_f32 v[8:9], v[92:93], v[8:9]
	v_add_u32_e32 v5, 0xc00, v59
	ds_write2_b64 v5, v[2:3], v[8:9] offset0:120 offset1:192
	v_mov_b32_e32 v5, v7
	v_mov_b32_e32 v41, v43
	v_pk_add_f32 v[2:3], v[0:1], v[4:5]
	v_mov_b32_e32 v13, v15
	v_pk_add_f32 v[0:1], v[0:1], v[40:41]
	;; [unrolled: 2-line block ×9, first 2 shown]
	v_pk_add_f32 v[0:1], v[80:81], v[0:1]
	v_add_u32_e32 v4, 0x1000, v59
	ds_write2_b64 v4, v[2:3], v[0:1] offset0:136 offset1:208
.LBB0_37:
	s_or_b64 exec, exec, s[0:1]
	s_waitcnt lgkmcnt(0)
	s_barrier
	ds_read2_b64 v[0:3], v67 offset1:88
	v_mad_u64_u32 v[10:11], s[0:1], s10, v66, 0
	v_mov_b32_e32 v4, v11
	v_mad_u64_u32 v[4:5], s[0:1], s11, v66, v[4:5]
	v_mov_b32_e32 v11, v4
	s_waitcnt lgkmcnt(0)
	v_mul_f32_e32 v4, v77, v1
	v_fmac_f32_e32 v4, v76, v0
	v_mul_f32_e32 v0, v77, v0
	s_mov_b32 s0, 0xa052bf5b
	v_fma_f32 v0, v76, v1, -v0
	s_mov_b32 s1, 0x3f54afd6
	v_cvt_f64_f32_e32 v[0:1], v0
	v_cvt_f64_f32_e32 v[4:5], v4
	v_mul_f64 v[0:1], v[0:1], s[0:1]
	v_mul_f64 v[4:5], v[4:5], s[0:1]
	v_cvt_f32_f64_e32 v13, v[0:1]
	v_mad_u64_u32 v[0:1], s[2:3], s8, v58, 0
	v_cvt_f32_f64_e32 v12, v[4:5]
	v_mov_b32_e32 v4, v1
	v_add_u32_e32 v1, 0x800, v67
	v_mad_u64_u32 v[14:15], s[2:3], s9, v58, v[4:5]
	ds_read2_b64 v[4:7], v1 offset0:140 offset1:228
	v_mov_b32_e32 v8, s12
	v_mov_b32_e32 v9, s13
	;; [unrolled: 1-line block ×3, first 2 shown]
	v_lshl_add_u64 v[8:9], v[10:11], 3, v[8:9]
	v_lshl_add_u64 v[0:1], v[0:1], 3, v[8:9]
	s_waitcnt lgkmcnt(0)
	v_mul_f32_e32 v8, v75, v5
	v_fmac_f32_e32 v8, v74, v4
	v_mul_f32_e32 v4, v75, v4
	v_fma_f32 v4, v74, v5, -v4
	v_cvt_f64_f32_e32 v[8:9], v8
	v_cvt_f64_f32_e32 v[4:5], v4
	s_mul_i32 s2, s9, 0x18c
	s_mul_hi_u32 s3, s8, 0x18c
	s_mul_hi_u32 s5, s8, 0xfffffecc
	v_mul_f64 v[8:9], v[8:9], s[0:1]
	v_mul_f64 v[4:5], v[4:5], s[0:1]
	s_add_i32 s3, s3, s2
	s_mul_i32 s2, s8, 0x18c
	s_mul_i32 s4, s9, 0xfffffecc
	s_sub_i32 s5, s5, s8
	v_cvt_f32_f64_e32 v8, v[8:9]
	v_cvt_f32_f64_e32 v9, v[4:5]
	s_lshl_b64 s[10:11], s[2:3], 3
	v_mul_f32_e32 v4, v73, v3
	s_add_i32 s5, s5, s4
	s_mul_i32 s4, s8, 0xfffffecc
	global_store_dwordx2 v[0:1], v[12:13], off
	v_lshl_add_u64 v[0:1], v[0:1], 0, s[10:11]
	v_fmac_f32_e32 v4, v72, v2
	v_mul_f32_e32 v2, v73, v2
	s_lshl_b64 s[12:13], s[4:5], 3
	global_store_dwordx2 v[0:1], v[8:9], off
	v_fma_f32 v2, v72, v3, -v2
	v_lshl_add_u64 v[8:9], v[0:1], 0, s[12:13]
	v_mul_f32_e32 v0, v71, v7
	v_cvt_f64_f32_e32 v[4:5], v4
	v_cvt_f64_f32_e32 v[2:3], v2
	v_fmac_f32_e32 v0, v70, v6
	v_mul_f64 v[4:5], v[4:5], s[0:1]
	v_mul_f64 v[2:3], v[2:3], s[0:1]
	v_cvt_f64_f32_e32 v[0:1], v0
	v_cvt_f32_f64_e32 v4, v[4:5]
	v_cvt_f32_f64_e32 v5, v[2:3]
	v_mul_f64 v[0:1], v[0:1], s[0:1]
	global_store_dwordx2 v[8:9], v[4:5], off
	v_cvt_f32_f64_e32 v4, v[0:1]
	v_mul_f32_e32 v0, v71, v6
	v_fma_f32 v0, v70, v7, -v0
	v_cvt_f64_f32_e32 v[6:7], v0
	v_add_u32_e32 v0, 0x400, v67
	ds_read2_b64 v[0:3], v0 offset0:48 offset1:136
	v_mul_f64 v[6:7], v[6:7], s[0:1]
	v_cvt_f32_f64_e32 v5, v[6:7]
	v_lshl_add_u64 v[8:9], v[8:9], 0, s[10:11]
	global_store_dwordx2 v[8:9], v[4:5], off
	s_waitcnt lgkmcnt(0)
	v_mul_f32_e32 v4, v69, v1
	v_fmac_f32_e32 v4, v68, v0
	v_cvt_f64_f32_e32 v[4:5], v4
	v_mul_f64 v[4:5], v[4:5], s[0:1]
	v_cvt_f32_f64_e32 v10, v[4:5]
	v_add_u32_e32 v4, 0x1000, v67
	ds_read2_b64 v[4:7], v4 offset0:60 offset1:148
	v_mul_f32_e32 v0, v69, v0
	v_fma_f32 v0, v68, v1, -v0
	v_cvt_f64_f32_e32 v[0:1], v0
	v_mul_f64 v[0:1], v[0:1], s[0:1]
	v_cvt_f32_f64_e32 v11, v[0:1]
	v_lshl_add_u64 v[0:1], v[8:9], 0, s[12:13]
	s_waitcnt lgkmcnt(0)
	v_mul_f32_e32 v8, v65, v5
	v_fmac_f32_e32 v8, v64, v4
	v_mul_f32_e32 v4, v65, v4
	v_fma_f32 v4, v64, v5, -v4
	v_cvt_f64_f32_e32 v[8:9], v8
	v_cvt_f64_f32_e32 v[4:5], v4
	v_mul_f64 v[8:9], v[8:9], s[0:1]
	v_mul_f64 v[4:5], v[4:5], s[0:1]
	v_cvt_f32_f64_e32 v8, v[8:9]
	v_cvt_f32_f64_e32 v9, v[4:5]
	v_mul_f32_e32 v4, v63, v3
	v_fmac_f32_e32 v4, v62, v2
	v_mul_f32_e32 v2, v63, v2
	v_fma_f32 v2, v62, v3, -v2
	v_cvt_f64_f32_e32 v[4:5], v4
	v_cvt_f64_f32_e32 v[2:3], v2
	v_mul_f64 v[4:5], v[4:5], s[0:1]
	v_mul_f64 v[2:3], v[2:3], s[0:1]
	v_cvt_f32_f64_e32 v4, v[4:5]
	v_cvt_f32_f64_e32 v5, v[2:3]
	v_mul_f32_e32 v2, v61, v7
	v_fmac_f32_e32 v2, v60, v6
	v_cvt_f64_f32_e32 v[2:3], v2
	v_mul_f64 v[2:3], v[2:3], s[0:1]
	global_store_dwordx2 v[0:1], v[10:11], off
	v_lshl_add_u64 v[0:1], v[0:1], 0, s[10:11]
	v_cvt_f32_f64_e32 v2, v[2:3]
	v_mul_f32_e32 v3, v61, v6
	global_store_dwordx2 v[0:1], v[8:9], off
	v_lshl_add_u64 v[0:1], v[0:1], 0, s[12:13]
	v_fma_f32 v3, v60, v7, -v3
	global_store_dwordx2 v[0:1], v[4:5], off
	v_cvt_f64_f32_e32 v[4:5], v3
	v_mul_f64 v[4:5], v[4:5], s[0:1]
	s_movk_i32 s8, 0x1000
	v_cvt_f32_f64_e32 v3, v[4:5]
	v_lshl_add_u64 v[0:1], v[0:1], 0, s[10:11]
	global_store_dwordx2 v[0:1], v[2:3], off
	s_and_b64 exec, exec, s[6:7]
	s_cbranch_execz .LBB0_39
; %bb.38:
	global_load_dwordx2 v[2:3], v[56:57], off offset:2816
	v_add_co_u32_e32 v4, vcc, s8, v56
	ds_read_b64 v[6:7], v67 offset:2816
	ds_read_b64 v[8:9], v67 offset:5984
	v_addc_co_u32_e32 v5, vcc, 0, v57, vcc
	global_load_dwordx2 v[4:5], v[4:5], off offset:1888
	v_lshl_add_u64 v[0:1], s[4:5], 3, v[0:1]
	s_waitcnt vmcnt(1) lgkmcnt(1)
	v_mul_f32_e32 v10, v7, v3
	v_mul_f32_e32 v3, v6, v3
	v_fmac_f32_e32 v10, v6, v2
	v_fma_f32 v6, v2, v7, -v3
	v_cvt_f64_f32_e32 v[2:3], v10
	v_cvt_f64_f32_e32 v[6:7], v6
	v_mul_f64 v[2:3], v[2:3], s[0:1]
	s_waitcnt vmcnt(0) lgkmcnt(0)
	v_mul_f32_e32 v10, v9, v5
	v_mul_f32_e32 v5, v8, v5
	v_mul_f64 v[6:7], v[6:7], s[0:1]
	v_fmac_f32_e32 v10, v8, v4
	v_fma_f32 v8, v4, v9, -v5
	v_cvt_f32_f64_e32 v2, v[2:3]
	v_cvt_f32_f64_e32 v3, v[6:7]
	v_cvt_f64_f32_e32 v[4:5], v10
	v_cvt_f64_f32_e32 v[6:7], v8
	global_store_dwordx2 v[0:1], v[2:3], off
	v_mul_f64 v[2:3], v[4:5], s[0:1]
	v_mul_f64 v[4:5], v[6:7], s[0:1]
	v_cvt_f32_f64_e32 v2, v[2:3]
	v_cvt_f32_f64_e32 v3, v[4:5]
	v_lshl_add_u64 v[0:1], s[2:3], 3, v[0:1]
	global_store_dwordx2 v[0:1], v[2:3], off
.LBB0_39:
	s_endpgm
	.section	.rodata,"a",@progbits
	.p2align	6, 0x0
	.amdhsa_kernel bluestein_single_fwd_len792_dim1_sp_op_CI_CI
		.amdhsa_group_segment_fixed_size 12672
		.amdhsa_private_segment_fixed_size 0
		.amdhsa_kernarg_size 104
		.amdhsa_user_sgpr_count 2
		.amdhsa_user_sgpr_dispatch_ptr 0
		.amdhsa_user_sgpr_queue_ptr 0
		.amdhsa_user_sgpr_kernarg_segment_ptr 1
		.amdhsa_user_sgpr_dispatch_id 0
		.amdhsa_user_sgpr_kernarg_preload_length 0
		.amdhsa_user_sgpr_kernarg_preload_offset 0
		.amdhsa_user_sgpr_private_segment_size 0
		.amdhsa_uses_dynamic_stack 0
		.amdhsa_enable_private_segment 0
		.amdhsa_system_sgpr_workgroup_id_x 1
		.amdhsa_system_sgpr_workgroup_id_y 0
		.amdhsa_system_sgpr_workgroup_id_z 0
		.amdhsa_system_sgpr_workgroup_info 0
		.amdhsa_system_vgpr_workitem_id 0
		.amdhsa_next_free_vgpr 194
		.amdhsa_next_free_sgpr 42
		.amdhsa_accum_offset 196
		.amdhsa_reserve_vcc 1
		.amdhsa_float_round_mode_32 0
		.amdhsa_float_round_mode_16_64 0
		.amdhsa_float_denorm_mode_32 3
		.amdhsa_float_denorm_mode_16_64 3
		.amdhsa_dx10_clamp 1
		.amdhsa_ieee_mode 1
		.amdhsa_fp16_overflow 0
		.amdhsa_tg_split 0
		.amdhsa_exception_fp_ieee_invalid_op 0
		.amdhsa_exception_fp_denorm_src 0
		.amdhsa_exception_fp_ieee_div_zero 0
		.amdhsa_exception_fp_ieee_overflow 0
		.amdhsa_exception_fp_ieee_underflow 0
		.amdhsa_exception_fp_ieee_inexact 0
		.amdhsa_exception_int_div_zero 0
	.end_amdhsa_kernel
	.text
.Lfunc_end0:
	.size	bluestein_single_fwd_len792_dim1_sp_op_CI_CI, .Lfunc_end0-bluestein_single_fwd_len792_dim1_sp_op_CI_CI
                                        ; -- End function
	.section	.AMDGPU.csdata,"",@progbits
; Kernel info:
; codeLenInByte = 11676
; NumSgprs: 48
; NumVgprs: 194
; NumAgprs: 0
; TotalNumVgprs: 194
; ScratchSize: 0
; MemoryBound: 0
; FloatMode: 240
; IeeeMode: 1
; LDSByteSize: 12672 bytes/workgroup (compile time only)
; SGPRBlocks: 5
; VGPRBlocks: 24
; NumSGPRsForWavesPerEU: 48
; NumVGPRsForWavesPerEU: 194
; AccumOffset: 196
; Occupancy: 2
; WaveLimiterHint : 1
; COMPUTE_PGM_RSRC2:SCRATCH_EN: 0
; COMPUTE_PGM_RSRC2:USER_SGPR: 2
; COMPUTE_PGM_RSRC2:TRAP_HANDLER: 0
; COMPUTE_PGM_RSRC2:TGID_X_EN: 1
; COMPUTE_PGM_RSRC2:TGID_Y_EN: 0
; COMPUTE_PGM_RSRC2:TGID_Z_EN: 0
; COMPUTE_PGM_RSRC2:TIDIG_COMP_CNT: 0
; COMPUTE_PGM_RSRC3_GFX90A:ACCUM_OFFSET: 48
; COMPUTE_PGM_RSRC3_GFX90A:TG_SPLIT: 0
	.text
	.p2alignl 6, 3212836864
	.fill 256, 4, 3212836864
	.type	__hip_cuid_813dfa36587c0bff,@object ; @__hip_cuid_813dfa36587c0bff
	.section	.bss,"aw",@nobits
	.globl	__hip_cuid_813dfa36587c0bff
__hip_cuid_813dfa36587c0bff:
	.byte	0                               ; 0x0
	.size	__hip_cuid_813dfa36587c0bff, 1

	.ident	"AMD clang version 19.0.0git (https://github.com/RadeonOpenCompute/llvm-project roc-6.4.0 25133 c7fe45cf4b819c5991fe208aaa96edf142730f1d)"
	.section	".note.GNU-stack","",@progbits
	.addrsig
	.addrsig_sym __hip_cuid_813dfa36587c0bff
	.amdgpu_metadata
---
amdhsa.kernels:
  - .agpr_count:     0
    .args:
      - .actual_access:  read_only
        .address_space:  global
        .offset:         0
        .size:           8
        .value_kind:     global_buffer
      - .actual_access:  read_only
        .address_space:  global
        .offset:         8
        .size:           8
        .value_kind:     global_buffer
      - .actual_access:  read_only
        .address_space:  global
        .offset:         16
        .size:           8
        .value_kind:     global_buffer
      - .actual_access:  read_only
        .address_space:  global
        .offset:         24
        .size:           8
        .value_kind:     global_buffer
      - .actual_access:  read_only
        .address_space:  global
        .offset:         32
        .size:           8
        .value_kind:     global_buffer
      - .offset:         40
        .size:           8
        .value_kind:     by_value
      - .address_space:  global
        .offset:         48
        .size:           8
        .value_kind:     global_buffer
      - .address_space:  global
        .offset:         56
        .size:           8
        .value_kind:     global_buffer
      - .address_space:  global
        .offset:         64
        .size:           8
        .value_kind:     global_buffer
      - .address_space:  global
        .offset:         72
        .size:           8
        .value_kind:     global_buffer
      - .offset:         80
        .size:           4
        .value_kind:     by_value
      - .address_space:  global
        .offset:         88
        .size:           8
        .value_kind:     global_buffer
      - .address_space:  global
        .offset:         96
        .size:           8
        .value_kind:     global_buffer
    .group_segment_fixed_size: 12672
    .kernarg_segment_align: 8
    .kernarg_segment_size: 104
    .language:       OpenCL C
    .language_version:
      - 2
      - 0
    .max_flat_workgroup_size: 176
    .name:           bluestein_single_fwd_len792_dim1_sp_op_CI_CI
    .private_segment_fixed_size: 0
    .sgpr_count:     48
    .sgpr_spill_count: 0
    .symbol:         bluestein_single_fwd_len792_dim1_sp_op_CI_CI.kd
    .uniform_work_group_size: 1
    .uses_dynamic_stack: false
    .vgpr_count:     194
    .vgpr_spill_count: 0
    .wavefront_size: 64
amdhsa.target:   amdgcn-amd-amdhsa--gfx950
amdhsa.version:
  - 1
  - 2
...

	.end_amdgpu_metadata
